;; amdgpu-corpus repo=ROCm/rocFFT kind=compiled arch=gfx1201 opt=O3
	.text
	.amdgcn_target "amdgcn-amd-amdhsa--gfx1201"
	.amdhsa_code_object_version 6
	.protected	bluestein_single_back_len150_dim1_dp_op_CI_CI ; -- Begin function bluestein_single_back_len150_dim1_dp_op_CI_CI
	.globl	bluestein_single_back_len150_dim1_dp_op_CI_CI
	.p2align	8
	.type	bluestein_single_back_len150_dim1_dp_op_CI_CI,@function
bluestein_single_back_len150_dim1_dp_op_CI_CI: ; @bluestein_single_back_len150_dim1_dp_op_CI_CI
; %bb.0:
	s_load_b128 s[16:19], s[0:1], 0x28
	v_mul_u32_u24_e32 v1, 0x3334, v0
	s_mov_b32 s2, exec_lo
	s_delay_alu instid0(VALU_DEP_1) | instskip(NEXT) | instid1(VALU_DEP_1)
	v_lshrrev_b32_e32 v1, 16, v1
	v_mad_co_u64_u32 v[2:3], null, ttmp9, 12, v[1:2]
	v_mov_b32_e32 v3, 0
	s_wait_kmcnt 0x0
	s_delay_alu instid0(VALU_DEP_1)
	v_cmpx_gt_u64_e64 s[16:17], v[2:3]
	s_cbranch_execz .LBB0_2
; %bb.1:
	s_clause 0x1
	s_load_b128 s[4:7], s[0:1], 0x18
	s_load_b128 s[8:11], s[0:1], 0x0
	v_mul_lo_u16 v1, v1, 5
	s_mov_b32 s16, 0x134454ff
	s_mov_b32 s17, 0x3fee6f0e
	;; [unrolled: 1-line block ×4, first 2 shown]
	v_sub_nc_u16 v119, v0, v1
	s_mov_b32 s25, 0xbfd3c6ef
	s_mov_b32 s27, 0xbfe9e377
	v_mov_b32_e32 v72, v2
	s_mov_b32 s26, s22
	v_and_b32_e32 v81, 0xffff, v119
	s_mov_b32 s20, 0xe8584caa
	s_mov_b32 s21, 0x3febb67a
	s_load_b64 s[0:1], s[0:1], 0x38
	s_delay_alu instid0(VALU_DEP_1)
	v_or_b32_e32 v11, 0x78, v81
	v_or_b32_e32 v10, 0x50, v81
	;; [unrolled: 1-line block ×3, first 2 shown]
	s_wait_kmcnt 0x0
	s_load_b128 s[12:15], s[4:5], 0x0
	v_lshlrev_b32_e32 v82, 4, v81
	s_clause 0x2
	scratch_store_b32 off, v11, off offset:4
	scratch_store_b32 off, v10, off
	scratch_store_b32 off, v16, off offset:628
	s_clause 0x1
	global_load_b128 v[83:86], v82, s[8:9]
	global_load_b128 v[62:65], v82, s[8:9] offset:1920
	s_wait_kmcnt 0x0
	v_mad_co_u64_u32 v[0:1], null, s14, v2, 0
	v_mad_co_u64_u32 v[2:3], null, s12, v81, 0
	;; [unrolled: 1-line block ×3, first 2 shown]
	s_mul_u64 s[2:3], s[12:13], 0xf0
	s_mul_u64 s[4:5], s[12:13], 0x1e0
	s_delay_alu instid0(VALU_DEP_2) | instskip(NEXT) | instid1(VALU_DEP_2)
	v_mad_co_u64_u32 v[4:5], null, s15, v72, v[1:2]
	v_mad_co_u64_u32 v[15:16], null, s13, v16, v[15:16]
	s_mov_b32 s15, 0xbfe2cf23
	s_delay_alu instid0(VALU_DEP_2) | instskip(SKIP_2) | instid1(VALU_DEP_4)
	v_mad_co_u64_u32 v[5:6], null, s13, v81, v[3:4]
	v_mov_b32_e32 v1, v4
	v_mad_co_u64_u32 v[6:7], null, s12, v10, 0
	v_lshlrev_b64_e32 v[14:15], 4, v[14:15]
	s_delay_alu instid0(VALU_DEP_3) | instskip(SKIP_2) | instid1(VALU_DEP_2)
	v_lshlrev_b64_e32 v[0:1], 4, v[0:1]
	v_mov_b32_e32 v3, v5
	v_mad_co_u64_u32 v[4:5], null, s12, v11, 0
	v_lshlrev_b64_e32 v[2:3], 4, v[2:3]
	s_delay_alu instid0(VALU_DEP_4) | instskip(SKIP_1) | instid1(VALU_DEP_4)
	v_add_co_u32 v17, vcc_lo, s18, v0
	v_add_co_ci_u32_e32 v18, vcc_lo, s19, v1, vcc_lo
	v_mad_co_u64_u32 v[8:9], null, s13, v11, v[5:6]
	s_delay_alu instid0(VALU_DEP_3) | instskip(SKIP_1) | instid1(VALU_DEP_3)
	v_add_co_u32 v12, vcc_lo, v17, v2
	s_wait_alu 0xfffd
	v_add_co_ci_u32_e32 v13, vcc_lo, v18, v3, vcc_lo
	s_mov_b32 s19, 0xbfee6f0e
	s_mov_b32 s18, s16
	s_delay_alu instid0(VALU_DEP_3)
	v_mad_co_u64_u32 v[9:10], null, s13, v10, v[7:8]
	global_load_b128 v[0:3], v[12:13], off
	v_mov_b32_e32 v5, v8
	s_mulk_i32 s13, 0xf7e0
	s_wait_alu 0xfffe
	s_sub_co_i32 s13, s13, s12
	v_mov_b32_e32 v7, v9
	v_lshlrev_b64_e32 v[4:5], 4, v[4:5]
	s_delay_alu instid0(VALU_DEP_2) | instskip(NEXT) | instid1(VALU_DEP_2)
	v_lshlrev_b64_e32 v[6:7], 4, v[6:7]
	v_add_co_u32 v4, vcc_lo, v17, v4
	s_wait_alu 0xfffd
	s_delay_alu instid0(VALU_DEP_3) | instskip(NEXT) | instid1(VALU_DEP_3)
	v_add_co_ci_u32_e32 v5, vcc_lo, v18, v5, vcc_lo
	v_add_co_u32 v8, vcc_lo, v17, v6
	s_wait_alu 0xfffd
	v_add_co_ci_u32_e32 v9, vcc_lo, v18, v7, vcc_lo
	global_load_b128 v[4:7], v[4:5], off
	global_load_b128 v[58:61], v82, s[8:9] offset:1280
	global_load_b128 v[8:11], v[8:9], off
	v_add_co_u32 v14, vcc_lo, v17, v14
	s_wait_alu 0xfffd
	v_add_co_ci_u32_e32 v15, vcc_lo, v18, v15, vcc_lo
	v_add_co_u32 v20, vcc_lo, v12, s2
	s_wait_alu 0xfffd
	v_add_co_ci_u32_e32 v21, vcc_lo, s3, v13, vcc_lo
	global_load_b128 v[54:57], v82, s[8:9] offset:640
	global_load_b128 v[12:15], v[14:15], off
	global_load_b128 v[87:90], v82, s[8:9] offset:240
	global_load_b128 v[16:19], v[20:21], off
	v_add_co_u32 v20, vcc_lo, v20, s2
	s_wait_alu 0xfffd
	v_add_co_ci_u32_e32 v21, vcc_lo, s3, v21, vcc_lo
	global_load_b128 v[91:94], v82, s[8:9] offset:480
	v_add_co_u32 v28, vcc_lo, v20, s2
	s_wait_alu 0xfffd
	v_add_co_ci_u32_e32 v29, vcc_lo, s3, v21, vcc_lo
	global_load_b128 v[20:23], v[20:21], off
	global_load_b128 v[95:98], v82, s[8:9] offset:720
	global_load_b128 v[24:27], v[28:29], off
	v_add_co_u32 v28, vcc_lo, v28, s2
	s_wait_alu 0xfffd
	v_add_co_ci_u32_e32 v29, vcc_lo, s3, v29, vcc_lo
	global_load_b128 v[99:102], v82, s[8:9] offset:960
	v_add_co_u32 v36, vcc_lo, v28, s2
	s_wait_alu 0xfffd
	v_add_co_ci_u32_e32 v37, vcc_lo, s3, v29, vcc_lo
	;; [unrolled: 10-line block ×3, first 2 shown]
	global_load_b128 v[36:39], v[36:37], off
	global_load_b128 v[73:76], v82, s[8:9] offset:1680
	global_load_b128 v[40:43], v[44:45], off
	s_wait_loadcnt 0x15
	scratch_store_b128 off, v[83:86], off offset:480 ; 16-byte Folded Spill
	s_wait_loadcnt 0x13
	v_mul_f64_e32 v[46:47], v[2:3], v[85:86]
	v_mul_f64_e32 v[48:49], v[0:1], v[85:86]
	s_wait_loadcnt 0x12
	v_mul_f64_e32 v[50:51], v[6:7], v[64:65]
	v_mul_f64_e32 v[52:53], v[4:5], v[64:65]
	s_wait_loadcnt 0x11
	scratch_store_b128 off, v[58:61], off offset:136 ; 16-byte Folded Spill
	s_wait_loadcnt 0xf
	scratch_store_b128 off, v[54:57], off offset:8 ; 16-byte Folded Spill
	;; [unrolled: 2-line block ×3, first 2 shown]
	v_fma_f64 v[0:1], v[0:1], v[83:84], v[46:47]
	v_mul_f64_e32 v[46:47], v[10:11], v[60:61]
	v_fma_f64 v[2:3], v[2:3], v[83:84], -v[48:49]
	v_mul_f64_e32 v[48:49], v[8:9], v[60:61]
	global_load_b128 v[83:86], v82, s[8:9] offset:1520
	scratch_store_b128 off, v[62:65], off offset:152 ; 16-byte Folded Spill
	s_wait_loadcnt 0xa
	scratch_store_b128 off, v[95:98], off offset:432 ; 16-byte Folded Spill
	s_wait_loadcnt 0x8
	;; [unrolled: 2-line block ×3, first 2 shown]
	scratch_store_b128 off, v[66:69], off offset:400 ; 16-byte Folded Spill
	v_fma_f64 v[4:5], v[4:5], v[62:63], v[50:51]
	s_wait_loadcnt 0x4
	scratch_store_b128 off, v[77:80], off offset:384 ; 16-byte Folded Spill
	v_fma_f64 v[6:7], v[6:7], v[62:63], -v[52:53]
	v_mul_f64_e32 v[50:51], v[14:15], v[56:57]
	v_mul_f64_e32 v[52:53], v[12:13], v[56:57]
	global_load_b128 v[62:65], v82, s[8:9] offset:320
	v_fma_f64 v[8:9], v[8:9], v[58:59], v[46:47]
	v_mul_f64_e32 v[46:47], v[18:19], v[89:90]
	v_fma_f64 v[10:11], v[10:11], v[58:59], -v[48:49]
	v_mul_f64_e32 v[48:49], v[16:17], v[89:90]
	global_load_b128 v[56:59], v82, s[8:9] offset:2160
	v_fma_f64 v[12:13], v[12:13], v[54:55], v[50:51]
	v_fma_f64 v[14:15], v[14:15], v[54:55], -v[52:53]
	v_add_co_u32 v54, vcc_lo, v44, s4
	s_wait_alu 0xfffd
	v_add_co_ci_u32_e32 v55, vcc_lo, s5, v45, vcc_lo
	v_mul_f64_e32 v[50:51], v[22:23], v[93:94]
	v_mul_f64_e32 v[52:53], v[20:21], v[93:94]
	v_fma_f64 v[16:17], v[16:17], v[87:88], v[46:47]
	v_mul_f64_e32 v[46:47], v[26:27], v[97:98]
	v_fma_f64 v[18:19], v[18:19], v[87:88], -v[48:49]
	v_mul_f64_e32 v[48:49], v[24:25], v[97:98]
	v_fma_f64 v[20:21], v[20:21], v[91:92], v[50:51]
	v_mul_f64_e32 v[50:51], v[30:31], v[101:102]
	v_fma_f64 v[22:23], v[22:23], v[91:92], -v[52:53]
	;; [unrolled: 4-line block ×3, first 2 shown]
	v_mul_f64_e32 v[48:49], v[32:33], v[68:69]
	v_fma_f64 v[28:29], v[28:29], v[99:100], v[50:51]
	s_wait_loadcnt 0x5
	v_mul_f64_e32 v[50:51], v[38:39], v[79:80]
	v_fma_f64 v[30:31], v[30:31], v[99:100], -v[52:53]
	v_mul_f64_e32 v[52:53], v[36:37], v[79:80]
	v_fma_f64 v[32:33], v[32:33], v[66:67], v[46:47]
	s_wait_loadcnt 0x3
	v_mul_f64_e32 v[46:47], v[42:43], v[75:76]
	v_fma_f64 v[34:35], v[34:35], v[66:67], -v[48:49]
	v_mul_f64_e32 v[48:49], v[40:41], v[75:76]
	global_load_b128 v[66:69], v82, s[8:9] offset:560
	v_fma_f64 v[36:37], v[36:37], v[77:78], v[50:51]
	v_fma_f64 v[38:39], v[38:39], v[77:78], -v[52:53]
	v_mad_co_u64_u32 v[52:53], null, 0xfffff7e0, s12, v[54:55]
	v_fma_f64 v[40:41], v[40:41], v[73:74], v[46:47]
	global_load_b128 v[44:47], v[54:55], off
	v_fma_f64 v[42:43], v[42:43], v[73:74], -v[48:49]
	s_wait_alu 0xfffe
	v_add_nc_u32_e32 v53, s13, v53
	s_wait_loadcnt 0x4
	scratch_store_b128 off, v[83:86], off offset:216 ; 16-byte Folded Spill
	s_wait_loadcnt 0x3
	scratch_store_b128 off, v[62:65], off offset:320 ; 16-byte Folded Spill
	;; [unrolled: 2-line block ×3, first 2 shown]
	s_wait_loadcnt 0x0
	v_mul_f64_e32 v[48:49], v[46:47], v[58:59]
	v_mul_f64_e32 v[50:51], v[44:45], v[58:59]
	global_load_b128 v[58:61], v82, s[8:9] offset:80
	scratch_store_b128 off, v[73:76], off offset:352 ; 16-byte Folded Spill
	global_load_b128 v[73:76], v82, s[8:9] offset:800
	scratch_store_b128 off, v[66:69], off offset:256 ; 16-byte Folded Spill
	v_fma_f64 v[44:45], v[44:45], v[56:57], v[48:49]
	v_fma_f64 v[46:47], v[46:47], v[56:57], -v[50:51]
	global_load_b128 v[48:51], v[52:53], off
	s_wait_loadcnt 0x2
	scratch_store_b128 off, v[58:61], off offset:368 ; 16-byte Folded Spill
	s_wait_loadcnt 0x1
	scratch_store_b128 off, v[73:76], off offset:288 ; 16-byte Folded Spill
	s_wait_loadcnt 0x0
	v_mul_f64_e32 v[56:57], v[48:49], v[60:61]
	v_mul_f64_e32 v[54:55], v[50:51], v[60:61]
	s_delay_alu instid0(VALU_DEP_2) | instskip(SKIP_3) | instid1(VALU_DEP_4)
	v_fma_f64 v[50:51], v[50:51], v[58:59], -v[56:57]
	v_add_co_u32 v56, vcc_lo, v52, s2
	s_wait_alu 0xfffd
	v_add_co_ci_u32_e32 v57, vcc_lo, s3, v53, vcc_lo
	v_fma_f64 v[48:49], v[48:49], v[58:59], v[54:55]
	global_load_b128 v[52:55], v[56:57], off
	s_wait_loadcnt 0x0
	v_mul_f64_e32 v[60:61], v[52:53], v[64:65]
	v_mul_f64_e32 v[58:59], v[54:55], v[64:65]
	s_delay_alu instid0(VALU_DEP_2) | instskip(SKIP_3) | instid1(VALU_DEP_4)
	v_fma_f64 v[54:55], v[54:55], v[62:63], -v[60:61]
	v_add_co_u32 v60, vcc_lo, v56, s2
	s_wait_alu 0xfffd
	v_add_co_ci_u32_e32 v61, vcc_lo, s3, v57, vcc_lo
	v_fma_f64 v[52:53], v[52:53], v[62:63], v[58:59]
	global_load_b128 v[56:59], v[60:61], off
	;; [unrolled: 10-line block ×3, first 2 shown]
	s_wait_loadcnt 0x0
	v_mul_f64_e32 v[68:69], v[60:61], v[75:76]
	v_mul_f64_e32 v[66:67], v[62:63], v[75:76]
	global_load_b128 v[75:78], v82, s[8:9] offset:1040
	scratch_store_b128 off, v[91:94], off offset:416 ; 16-byte Folded Spill
	v_fma_f64 v[62:63], v[62:63], v[73:74], -v[68:69]
	v_add_co_u32 v68, vcc_lo, v64, s2
	s_wait_alu 0xfffd
	v_add_co_ci_u32_e32 v69, vcc_lo, s3, v65, vcc_lo
	v_fma_f64 v[60:61], v[60:61], v[73:74], v[66:67]
	global_load_b128 v[64:67], v[68:69], off
	v_add_co_u32 v68, vcc_lo, v68, s4
	s_wait_alu 0xfffd
	v_add_co_ci_u32_e32 v69, vcc_lo, s5, v69, vcc_lo
	s_wait_loadcnt 0x1
	scratch_store_b128 off, v[75:78], off offset:304 ; 16-byte Folded Spill
	s_wait_loadcnt 0x0
	v_mul_f64_e32 v[70:71], v[66:67], v[77:78]
	v_mul_f64_e32 v[73:74], v[64:65], v[77:78]
	global_load_b128 v[77:80], v[68:69], off
	v_add_co_u32 v68, vcc_lo, v68, s2
	s_wait_alu 0xfffd
	v_add_co_ci_u32_e32 v69, vcc_lo, s3, v69, vcc_lo
	v_fma_f64 v[64:65], v[64:65], v[75:76], v[70:71]
	v_fma_f64 v[66:67], v[66:67], v[75:76], -v[73:74]
	s_wait_loadcnt 0x0
	v_mul_f64_e32 v[70:71], v[79:80], v[85:86]
	v_mul_f64_e32 v[73:74], v[77:78], v[85:86]
	s_delay_alu instid0(VALU_DEP_2) | instskip(NEXT) | instid1(VALU_DEP_2)
	v_fma_f64 v[120:121], v[77:78], v[83:84], v[70:71]
	v_fma_f64 v[122:123], v[79:80], v[83:84], -v[73:74]
	global_load_b128 v[83:86], v82, s[8:9] offset:1760
	global_load_b128 v[77:80], v[68:69], off
	v_add_co_u32 v68, vcc_lo, v68, s2
	s_wait_alu 0xfffd
	v_add_co_ci_u32_e32 v69, vcc_lo, s3, v69, vcc_lo
	s_wait_loadcnt 0x1
	scratch_store_b128 off, v[83:86], off offset:272 ; 16-byte Folded Spill
	s_wait_loadcnt 0x0
	v_mul_f64_e32 v[70:71], v[79:80], v[85:86]
	v_mul_f64_e32 v[73:74], v[77:78], v[85:86]
	s_delay_alu instid0(VALU_DEP_2) | instskip(NEXT) | instid1(VALU_DEP_2)
	v_fma_f64 v[124:125], v[77:78], v[83:84], v[70:71]
	v_fma_f64 v[126:127], v[79:80], v[83:84], -v[73:74]
	global_load_b128 v[83:86], v82, s[8:9] offset:2000
	global_load_b128 v[77:80], v[68:69], off
	v_add_co_u32 v68, vcc_lo, v68, s2
	s_wait_alu 0xfffd
	v_add_co_ci_u32_e32 v69, vcc_lo, s3, v69, vcc_lo
	s_wait_loadcnt 0x0
	v_mul_f64_e32 v[70:71], v[79:80], v[85:86]
	v_mul_f64_e32 v[73:74], v[77:78], v[85:86]
	s_delay_alu instid0(VALU_DEP_2) | instskip(NEXT) | instid1(VALU_DEP_2)
	v_fma_f64 v[128:129], v[77:78], v[83:84], v[70:71]
	v_fma_f64 v[130:131], v[79:80], v[83:84], -v[73:74]
	global_load_b128 v[75:78], v82, s[8:9] offset:2240
	scratch_store_b128 off, v[83:86], off offset:232 ; 16-byte Folded Spill
	global_load_b128 v[84:87], v[68:69], off
	v_mad_co_u64_u32 v[68:69], null, 0xfffff7e0, s12, v[68:69]
	s_delay_alu instid0(VALU_DEP_1)
	v_add_nc_u32_e32 v69, s13, v69
	s_mov_b32 s12, 0x4755a5e
	s_mov_b32 s13, 0x3fe2cf23
	s_wait_alu 0xfffe
	s_mov_b32 s14, s12
	global_load_b128 v[88:91], v[68:69], off
	v_add_co_u32 v68, vcc_lo, v68, s2
	s_wait_alu 0xfffd
	v_add_co_ci_u32_e32 v69, vcc_lo, s3, v69, vcc_lo
	global_load_b128 v[140:143], v[68:69], off
	v_add_co_u32 v68, vcc_lo, v68, s4
	s_wait_alu 0xfffd
	v_add_co_ci_u32_e32 v69, vcc_lo, s5, v69, vcc_lo
	;; [unrolled: 4-line block ×8, first 2 shown]
	s_mov_b32 s2, 0x372fe950
	s_mov_b32 s3, 0x3fd3c6ef
	s_wait_alu 0xfffe
	s_mov_b32 s24, s2
	s_wait_loadcnt 0x9
	scratch_store_b128 off, v[75:78], off offset:184 ; 16-byte Folded Spill
	s_wait_loadcnt 0x8
	v_mul_f64_e32 v[70:71], v[86:87], v[77:78]
	v_mul_f64_e32 v[73:74], v[84:85], v[77:78]
	s_delay_alu instid0(VALU_DEP_2) | instskip(NEXT) | instid1(VALU_DEP_2)
	v_fma_f64 v[132:133], v[84:85], v[75:76], v[70:71]
	v_fma_f64 v[134:135], v[86:87], v[75:76], -v[73:74]
	global_load_b128 v[75:78], v82, s[8:9] offset:160
	s_wait_loadcnt 0x0
	v_mul_f64_e32 v[70:71], v[90:91], v[77:78]
	v_mul_f64_e32 v[73:74], v[88:89], v[77:78]
	scratch_store_b128 off, v[75:78], off offset:168 ; 16-byte Folded Spill
	v_fma_f64 v[136:137], v[88:89], v[75:76], v[70:71]
	v_fma_f64 v[138:139], v[90:91], v[75:76], -v[73:74]
	global_load_b128 v[75:78], v82, s[8:9] offset:400
	s_wait_loadcnt 0x0
	v_mul_f64_e32 v[70:71], v[142:143], v[77:78]
	v_mul_f64_e32 v[73:74], v[140:141], v[77:78]
	scratch_store_b128 off, v[75:78], off offset:200 ; 16-byte Folded Spill
	;; [unrolled: 7-line block ×8, first 2 shown]
	v_fma_f64 v[164:165], v[164:165], v[75:76], v[70:71]
	v_fma_f64 v[166:167], v[166:167], v[75:76], -v[73:74]
	global_load_b128 v[168:171], v[68:69], off
	global_load_b128 v[73:76], v82, s[8:9] offset:2320
	s_wait_loadcnt 0x0
	v_mul_f64_e32 v[68:69], v[170:171], v[75:76]
	v_mul_f64_e32 v[70:71], v[168:169], v[75:76]
	s_clause 0x1
	scratch_store_b128 off, v[73:76], off offset:104
	scratch_store_b64 off, v[72:73], off offset:248
	v_fma_f64 v[168:169], v[168:169], v[73:74], v[68:69]
	v_mul_hi_u32 v68, 0xaaaaaaab, v72
	v_fma_f64 v[170:171], v[170:171], v[73:74], -v[70:71]
	s_delay_alu instid0(VALU_DEP_2) | instskip(NEXT) | instid1(VALU_DEP_1)
	v_lshrrev_b32_e32 v68, 3, v68
	v_mul_lo_u32 v68, v68, 12
	s_delay_alu instid0(VALU_DEP_1) | instskip(NEXT) | instid1(VALU_DEP_1)
	v_sub_nc_u32_e32 v68, v72, v68
	v_mul_u32_u24_e32 v68, 0x96, v68
	s_delay_alu instid0(VALU_DEP_1)
	v_lshlrev_b32_e32 v68, 4, v68
	scratch_store_b32 off, v68, off offset:564 ; 4-byte Folded Spill
	v_add_nc_u32_e32 v68, v82, v68
	ds_store_b128 v68, v[12:15] offset:640
	ds_store_b128 v68, v[0:3]
	ds_store_b128 v68, v[4:7] offset:1920
	ds_store_b128 v68, v[8:11] offset:1280
	;; [unrolled: 1-line block ×28, first 2 shown]
	s_load_b128 s[4:7], s[6:7], 0x0
	global_wb scope:SCOPE_SE
	s_wait_storecnt_dscnt 0x0
	s_wait_kmcnt 0x0
	s_barrier_signal -1
	s_barrier_wait -1
	global_inv scope:SCOPE_SE
	ds_load_b128 v[4:7], v68 offset:480
	ds_load_b128 v[0:3], v68
	ds_load_b128 v[14:17], v68 offset:960
	ds_load_b128 v[20:23], v68 offset:1440
	;; [unrolled: 1-line block ×3, first 2 shown]
	s_wait_dscnt 0x3
	v_add_f64_e32 v[8:9], v[0:1], v[4:5]
	s_wait_dscnt 0x2
	v_add_f64_e64 v[10:11], v[4:5], -v[14:15]
	s_wait_dscnt 0x1
	v_add_f64_e64 v[12:13], v[16:17], -v[22:23]
	s_wait_dscnt 0x0
	v_add_f64_e32 v[24:25], v[4:5], v[28:29]
	v_add_f64_e64 v[18:19], v[4:5], -v[28:29]
	v_add_f64_e64 v[42:43], v[28:29], -v[20:21]
	;; [unrolled: 1-line block ×3, first 2 shown]
	v_add_f64_e32 v[26:27], v[6:7], v[30:31]
	v_add_f64_e64 v[44:45], v[30:31], -v[22:23]
	v_add_f64_e32 v[32:33], v[8:9], v[14:15]
	v_add_f64_e32 v[8:9], v[2:3], v[6:7]
	scratch_store_b64 off, v[10:11], off offset:580 ; 8-byte Folded Spill
	v_add_f64_e64 v[10:11], v[14:15], -v[4:5]
	v_fma_f64 v[24:25], v[24:25], -0.5, v[0:1]
	v_fma_f64 v[26:27], v[26:27], -0.5, v[2:3]
	v_add_f64_e32 v[4:5], v[32:33], v[20:21]
	v_add_f64_e32 v[34:35], v[8:9], v[16:17]
	;; [unrolled: 1-line block ×3, first 2 shown]
	v_add_f64_e64 v[14:15], v[14:15], -v[20:21]
	v_add_f64_e64 v[20:21], v[20:21], -v[28:29]
	scratch_store_b64 off, v[10:11], off offset:496 ; 8-byte Folded Spill
	v_add_f64_e32 v[10:11], v[16:17], v[22:23]
	v_add_f64_e64 v[16:17], v[16:17], -v[6:7]
	v_add_f64_e32 v[120:121], v[4:5], v[28:29]
	v_fma_f64 v[246:247], v[8:9], -0.5, v[0:1]
	scratch_store_b64 off, v[20:21], off offset:532 ; 8-byte Folded Spill
	v_add_f64_e64 v[20:21], v[22:23], -v[30:31]
	v_fma_f64 v[248:249], v[10:11], -0.5, v[2:3]
	scratch_store_b64 off, v[16:17], off offset:512 ; 8-byte Folded Spill
	v_add_f64_e64 v[16:17], v[6:7], -v[30:31]
	v_add_f64_e32 v[6:7], v[34:35], v[22:23]
	scratch_store_b64 off, v[20:21], off offset:548 ; 8-byte Folded Spill
	v_add_f64_e32 v[122:123], v[6:7], v[30:31]
	ds_load_b128 v[4:7], v68 offset:240
	ds_load_b128 v[48:51], v68 offset:720
	ds_load_b128 v[28:31], v68 offset:1200
	ds_load_b128 v[52:55], v68 offset:1680
	ds_load_b128 v[60:63], v68 offset:2160
	ds_load_b128 v[124:127], v68 offset:80
	ds_load_b128 v[132:135], v68 offset:560
	ds_load_b128 v[148:151], v68 offset:2000
	ds_load_b128 v[144:147], v68 offset:1520
	s_wait_dscnt 0x7
	v_add_f64_e32 v[20:21], v[4:5], v[48:49]
	s_wait_dscnt 0x6
	v_add_f64_e64 v[56:57], v[48:49], -v[28:29]
	s_wait_dscnt 0x5
	v_add_f64_e32 v[32:33], v[28:29], v[52:53]
	v_add_f64_e64 v[40:41], v[28:29], -v[48:49]
	v_add_f64_e32 v[38:39], v[30:31], v[54:55]
	v_add_f64_e64 v[22:23], v[28:29], -v[52:53]
	v_add_f64_e64 v[58:59], v[50:51], -v[30:31]
	;; [unrolled: 1-line block ×3, first 2 shown]
	s_wait_dscnt 0x4
	v_add_f64_e32 v[83:84], v[48:49], v[60:61]
	v_add_f64_e32 v[85:86], v[50:51], v[62:63]
	v_add_f64_e64 v[64:65], v[60:61], -v[52:53]
	v_add_f64_e64 v[66:67], v[62:63], -v[54:55]
	s_wait_dscnt 0x1
	v_add_f64_e32 v[95:96], v[132:133], v[148:149]
	v_add_f64_e32 v[97:98], v[134:135], v[150:151]
	s_wait_dscnt 0x0
	v_add_f64_e64 v[142:143], v[148:149], -v[144:145]
	v_add_f64_e32 v[34:35], v[20:21], v[28:29]
	v_add_f64_e32 v[20:21], v[6:7], v[50:51]
	v_add_f64_e64 v[28:29], v[48:49], -v[60:61]
	v_fma_f64 v[252:253], v[32:33], -0.5, v[4:5]
	v_fma_f64 v[250:251], v[38:39], -0.5, v[6:7]
	v_fma_f64 v[32:33], v[83:84], -0.5, v[4:5]
	v_fma_f64 v[254:255], v[85:86], -0.5, v[6:7]
	v_fma_f64 v[244:245], v[95:96], -0.5, v[124:125]
	v_fma_f64 v[242:243], v[97:98], -0.5, v[126:127]
	v_add_f64_e32 v[34:35], v[34:35], v[52:53]
	v_add_f64_e32 v[36:37], v[20:21], v[30:31]
	v_add_f64_e64 v[20:21], v[30:31], -v[54:55]
	v_add_f64_e64 v[30:31], v[50:51], -v[62:63]
	;; [unrolled: 1-line block ×4, first 2 shown]
	v_add_f64_e32 v[87:88], v[34:35], v[60:61]
	v_add_f64_e32 v[36:37], v[36:37], v[54:55]
	;; [unrolled: 1-line block ×4, first 2 shown]
	v_fma_f64 v[50:51], v[22:23], s[16:17], v[254:255]
	v_add_f64_e32 v[46:47], v[46:47], v[52:53]
	v_fma_f64 v[52:53], v[20:21], s[18:19], v[32:33]
	v_add_f64_e64 v[8:9], v[120:121], -v[87:88]
	v_add_f64_e32 v[89:90], v[36:37], v[62:63]
	v_add_f64_e32 v[36:37], v[126:127], v[134:135]
	ds_load_b128 v[60:63], v68 offset:1040
	ds_load_b128 v[158:161], v68 offset:800
	;; [unrolled: 1-line block ×4, first 2 shown]
	v_fma_f64 v[50:51], v[28:29], s[14:15], v[50:51]
	v_fma_f64 v[52:53], v[30:31], s[12:13], v[52:53]
	ds_load_b128 v[166:169], v68 offset:1760
	s_wait_dscnt 0x4
	v_add_f64_e32 v[34:35], v[34:35], v[60:61]
	v_add_f64_e32 v[91:92], v[60:61], v[144:145]
	v_add_f64_e64 v[48:49], v[62:63], -v[146:147]
	v_add_f64_e64 v[130:131], v[132:133], -v[60:61]
	;; [unrolled: 1-line block ×3, first 2 shown]
	v_add_f64_e32 v[93:94], v[62:63], v[146:147]
	v_add_f64_e64 v[54:55], v[60:61], -v[144:145]
	v_add_f64_e64 v[138:139], v[134:135], -v[62:63]
	;; [unrolled: 1-line block ×5, first 2 shown]
	s_wait_dscnt 0x1
	v_add_f64_e32 v[109:110], v[160:161], v[176:177]
	v_add_f64_e32 v[107:108], v[158:159], v[174:175]
	s_wait_dscnt 0x0
	v_add_f64_e64 v[170:171], v[174:175], -v[166:167]
	v_add_f64_e64 v[172:173], v[176:177], -v[168:169]
	;; [unrolled: 1-line block ×4, first 2 shown]
	v_add_f64_e32 v[36:37], v[36:37], v[62:63]
	v_add_f64_e64 v[62:63], v[132:133], -v[148:149]
	v_add_f64_e64 v[132:133], v[144:145], -v[148:149]
	v_fma_f64 v[50:51], v[46:47], s[2:3], v[50:51]
	v_fma_f64 v[52:53], v[40:41], s[2:3], v[52:53]
	v_add_f64_e32 v[34:35], v[34:35], v[144:145]
	v_add_f64_e64 v[144:145], v[150:151], -v[146:147]
	v_fma_f64 v[83:84], v[91:92], -0.5, v[124:125]
	v_fma_f64 v[85:86], v[93:94], -0.5, v[126:127]
	v_add_f64_e32 v[36:37], v[36:37], v[146:147]
	v_add_f64_e32 v[69:70], v[69:70], v[132:133]
	;; [unrolled: 1-line block ×4, first 2 shown]
	ds_load_b128 v[146:149], v68 offset:1280
	ds_load_b128 v[212:215], v68 offset:160
	;; [unrolled: 1-line block ×5, first 2 shown]
	v_add_f64_e32 v[101:102], v[36:37], v[150:151]
	v_add_f64_e32 v[36:37], v[206:207], v[160:161]
	s_wait_dscnt 0x4
	v_add_f64_e32 v[103:104], v[146:147], v[166:167]
	v_add_f64_e64 v[136:137], v[148:149], -v[168:169]
	v_add_f64_e32 v[105:106], v[148:149], v[168:169]
	v_add_f64_e64 v[140:141], v[146:147], -v[166:167]
	v_add_f64_e64 v[164:165], v[160:161], -v[148:149]
	;; [unrolled: 1-line block ×5, first 2 shown]
	s_wait_dscnt 0x1
	v_add_f64_e32 v[202:203], v[180:181], v[196:197]
	v_add_f64_e32 v[75:76], v[182:183], v[198:199]
	s_wait_dscnt 0x0
	v_add_f64_e64 v[190:191], v[196:197], -v[192:193]
	v_add_f64_e64 v[184:185], v[194:195], -v[198:199]
	v_add_f64_e32 v[34:35], v[34:35], v[146:147]
	v_add_f64_e64 v[146:147], v[158:159], -v[174:175]
	v_add_f64_e32 v[36:37], v[36:37], v[148:149]
	v_add_f64_e64 v[148:149], v[160:161], -v[176:177]
	v_add_f64_e64 v[160:161], v[166:167], -v[174:175]
	v_fma_f64 v[91:92], v[202:203], -0.5, v[212:213]
	v_fma_f64 v[75:76], v[75:76], -0.5, v[214:215]
	v_add_f64_e32 v[34:35], v[34:35], v[166:167]
	v_add_f64_e32 v[36:37], v[36:37], v[168:169]
	ds_load_b128 v[166:169], v68 offset:1120
	v_add_f64_e32 v[111:112], v[34:35], v[174:175]
	v_add_f64_e32 v[34:35], v[212:213], v[180:181]
	s_wait_dscnt 0x0
	v_add_f64_e32 v[115:116], v[166:167], v[192:193]
	v_add_f64_e64 v[152:153], v[168:169], -v[194:195]
	v_add_f64_e64 v[178:179], v[180:181], -v[166:167]
	;; [unrolled: 1-line block ×3, first 2 shown]
	v_add_f64_e32 v[117:118], v[168:169], v[194:195]
	v_add_f64_e64 v[158:159], v[166:167], -v[192:193]
	v_add_f64_e64 v[186:187], v[182:183], -v[168:169]
	v_add_f64_e32 v[113:114], v[36:37], v[176:177]
	v_add_f64_e32 v[36:37], v[214:215], v[182:183]
	v_add_f64_e64 v[176:177], v[168:169], -v[182:183]
	v_add_f64_e64 v[4:5], v[99:100], -v[111:112]
	v_add_f64_e32 v[34:35], v[34:35], v[166:167]
	v_add_f64_e64 v[166:167], v[182:183], -v[198:199]
	v_add_f64_e64 v[182:183], v[192:193], -v[196:197]
	;; [unrolled: 1-line block ×3, first 2 shown]
	v_add_f64_e32 v[36:37], v[36:37], v[168:169]
	v_add_f64_e64 v[168:169], v[180:181], -v[196:197]
	v_add_f64_e32 v[34:35], v[34:35], v[192:193]
	v_add_f64_e64 v[192:193], v[198:199], -v[194:195]
	s_delay_alu instid0(VALU_DEP_4) | instskip(NEXT) | instid1(VALU_DEP_3)
	v_add_f64_e32 v[36:37], v[36:37], v[194:195]
	v_add_f64_e32 v[73:74], v[34:35], v[196:197]
	s_delay_alu instid0(VALU_DEP_2)
	v_add_f64_e32 v[71:72], v[36:37], v[198:199]
	ds_load_b128 v[34:37], v68 offset:400
	ds_load_b128 v[208:211], v68 offset:880
	;; [unrolled: 1-line block ×5, first 2 shown]
	s_wait_dscnt 0x3
	v_add_f64_e32 v[79:80], v[34:35], v[208:209]
	s_wait_dscnt 0x2
	v_add_f64_e64 v[216:217], v[210:211], -v[196:197]
	s_wait_dscnt 0x1
	v_add_f64_e64 v[180:181], v[196:197], -v[220:221]
	v_add_f64_e32 v[232:233], v[196:197], v[220:221]
	v_add_f64_e64 v[200:201], v[196:197], -v[210:211]
	s_wait_dscnt 0x0
	v_add_f64_e32 v[236:237], v[210:211], v[224:225]
	v_add_f64_e32 v[230:231], v[194:195], v[218:219]
	;; [unrolled: 1-line block ×3, first 2 shown]
	v_add_f64_e64 v[198:199], v[194:195], -v[208:209]
	v_add_f64_e64 v[188:189], v[194:195], -v[218:219]
	v_add_f64_e32 v[226:227], v[79:80], v[194:195]
	v_add_f64_e32 v[79:80], v[36:37], v[210:211]
	v_fma_f64 v[38:39], v[234:235], -0.5, v[34:35]
	s_delay_alu instid0(VALU_DEP_3) | instskip(NEXT) | instid1(VALU_DEP_3)
	v_add_f64_e32 v[238:239], v[226:227], v[218:219]
	v_add_f64_e32 v[228:229], v[79:80], v[196:197]
	v_add_f64_e64 v[196:197], v[210:211], -v[224:225]
	v_add_f64_e64 v[210:211], v[220:221], -v[224:225]
	;; [unrolled: 1-line block ×6, first 2 shown]
	v_add_f64_e32 v[218:219], v[120:121], v[87:88]
	v_fma_f64 v[87:88], v[105:106], -0.5, v[206:207]
	v_add_f64_e32 v[120:121], v[99:100], v[111:112]
	v_fma_f64 v[99:100], v[54:55], s[16:17], v[242:243]
	v_add_f64_e32 v[222:223], v[238:239], v[222:223]
	v_add_f64_e32 v[240:241], v[228:229], v[220:221]
	v_add_f64_e64 v[228:229], v[224:225], -v[220:221]
	v_add_f64_e32 v[220:221], v[122:123], v[89:90]
	v_add_f64_e32 v[122:123], v[101:102], v[113:114]
	scratch_load_b32 v101, off, off offset:564 th:TH_LOAD_LU ; 4-byte Folded Reload
	v_fma_f64 v[89:90], v[103:104], -0.5, v[204:205]
	v_fma_f64 v[238:239], v[109:110], -0.5, v[206:207]
	;; [unrolled: 1-line block ×5, first 2 shown]
	global_wb scope:SCOPE_SE
	s_wait_loadcnt 0x0
	s_wait_storecnt 0x0
	s_barrier_signal -1
	s_barrier_wait -1
	global_inv scope:SCOPE_SE
	v_fma_f64 v[99:100], v[62:63], s[14:15], v[99:100]
	v_add_f64_e32 v[0:1], v[73:74], v[222:223]
	v_add_f64_e32 v[224:225], v[240:241], v[224:225]
	v_fma_f64 v[240:241], v[107:108], -0.5, v[204:205]
	v_fma_f64 v[204:205], v[115:116], -0.5, v[212:213]
	v_fma_f64 v[212:213], v[232:233], -0.5, v[36:37]
	v_mul_lo_u16 v36, v119, 10
	v_add_f64_e64 v[124:125], v[73:74], -v[222:223]
	v_add_f64_e32 v[73:74], v[56:57], v[64:65]
	s_delay_alu instid0(VALU_DEP_3)
	v_and_b32_e32 v36, 0xffff, v36
	v_add_f64_e32 v[2:3], v[71:72], v[224:225]
	v_add_f64_e64 v[126:127], v[71:72], -v[224:225]
	v_add_f64_e32 v[71:72], v[77:78], v[44:45]
	v_add_f64_e32 v[77:78], v[58:59], v[66:67]
	v_lshl_add_u32 v203, v36, 4, v101
	ds_store_b128 v203, v[218:221]
	ds_store_b128 v203, v[8:11] offset:80
	scratch_load_b64 v[8:9], off, off offset:580 th:TH_LOAD_LU ; 8-byte Folded Reload
	v_fma_f64 v[10:11], v[28:29], s[18:19], v[250:251]
	s_delay_alu instid0(VALU_DEP_1) | instskip(NEXT) | instid1(VALU_DEP_1)
	v_fma_f64 v[10:11], v[22:23], s[14:15], v[10:11]
	v_fma_f64 v[10:11], v[77:78], s[2:3], v[10:11]
	s_wait_loadcnt 0x0
	v_add_f64_e32 v[36:37], v[8:9], v[42:43]
	v_fma_f64 v[8:9], v[30:31], s[16:17], v[252:253]
	s_delay_alu instid0(VALU_DEP_1) | instskip(NEXT) | instid1(VALU_DEP_1)
	v_fma_f64 v[8:9], v[20:21], s[12:13], v[8:9]
	v_fma_f64 v[8:9], v[73:74], s[2:3], v[8:9]
	s_delay_alu instid0(VALU_DEP_1) | instskip(SKIP_1) | instid1(VALU_DEP_2)
	v_mul_f64_e32 v[42:43], s[22:23], v[8:9]
	v_mul_f64_e32 v[8:9], s[14:15], v[8:9]
	v_fma_f64 v[42:43], v[10:11], s[12:13], v[42:43]
	s_delay_alu instid0(VALU_DEP_2) | instskip(SKIP_2) | instid1(VALU_DEP_2)
	v_fma_f64 v[44:45], v[10:11], s[22:23], v[8:9]
	v_fma_f64 v[8:9], v[16:17], s[16:17], v[246:247]
	;; [unrolled: 1-line block ×4, first 2 shown]
	s_delay_alu instid0(VALU_DEP_2) | instskip(NEXT) | instid1(VALU_DEP_2)
	v_fma_f64 v[10:11], v[14:15], s[14:15], v[10:11]
	v_fma_f64 v[56:57], v[36:37], s[2:3], v[8:9]
	s_delay_alu instid0(VALU_DEP_2) | instskip(NEXT) | instid1(VALU_DEP_2)
	v_fma_f64 v[58:59], v[71:72], s[2:3], v[10:11]
	v_add_f64_e32 v[8:9], v[56:57], v[42:43]
	s_delay_alu instid0(VALU_DEP_2)
	v_add_f64_e32 v[10:11], v[58:59], v[44:45]
	v_add_f64_e64 v[42:43], v[56:57], -v[42:43]
	v_add_f64_e64 v[44:45], v[58:59], -v[44:45]
	s_clause 0x1
	scratch_load_b64 v[56:57], off, off offset:496 th:TH_LOAD_LU
	scratch_load_b64 v[58:59], off, off offset:532 th:TH_LOAD_LU
	s_wait_loadcnt 0x0
	v_add_f64_e32 v[64:65], v[56:57], v[58:59]
	s_clause 0x1
	scratch_load_b64 v[56:57], off, off offset:512 th:TH_LOAD_LU
	scratch_load_b64 v[58:59], off, off offset:548 th:TH_LOAD_LU
	s_wait_loadcnt 0x0
	v_add_f64_e32 v[66:67], v[56:57], v[58:59]
	v_mul_f64_e32 v[56:57], s[16:17], v[50:51]
	s_delay_alu instid0(VALU_DEP_1) | instskip(SKIP_1) | instid1(VALU_DEP_1)
	v_fma_f64 v[56:57], v[52:53], s[2:3], v[56:57]
	v_mul_f64_e32 v[52:53], s[18:19], v[52:53]
	v_fma_f64 v[58:59], v[50:51], s[2:3], v[52:53]
	v_fma_f64 v[50:51], v[12:13], s[18:19], v[24:25]
	;; [unrolled: 1-line block ×4, first 2 shown]
	s_delay_alu instid0(VALU_DEP_3) | instskip(NEXT) | instid1(VALU_DEP_3)
	v_fma_f64 v[50:51], v[16:17], s[12:13], v[50:51]
	v_fma_f64 v[24:25], v[16:17], s[14:15], v[24:25]
	s_delay_alu instid0(VALU_DEP_3) | instskip(SKIP_1) | instid1(VALU_DEP_4)
	v_fma_f64 v[52:53], v[18:19], s[14:15], v[52:53]
	v_fma_f64 v[16:17], v[16:17], s[18:19], v[246:247]
	;; [unrolled: 1-line block ×3, first 2 shown]
	s_delay_alu instid0(VALU_DEP_4)
	v_fma_f64 v[64:65], v[64:65], s[2:3], v[24:25]
	v_fma_f64 v[24:25], v[14:15], s[18:19], v[26:27]
	;; [unrolled: 1-line block ×5, first 2 shown]
	v_add_f64_e32 v[50:51], v[93:94], v[56:57]
	v_add_f64_e64 v[56:57], v[93:94], -v[56:57]
	v_fma_f64 v[24:25], v[18:19], s[12:13], v[24:25]
	v_fma_f64 v[18:19], v[18:19], s[16:17], v[248:249]
	;; [unrolled: 1-line block ×5, first 2 shown]
	v_add_f64_e32 v[52:53], v[95:96], v[58:59]
	v_add_f64_e64 v[58:59], v[95:96], -v[58:59]
	v_fma_f64 v[95:96], v[136:137], s[18:19], v[240:241]
	v_fma_f64 v[66:67], v[66:67], s[2:3], v[24:25]
	v_fma_f64 v[24:25], v[20:21], s[16:17], v[32:33]
	v_fma_f64 v[14:15], v[14:15], s[12:13], v[18:19]
	v_fma_f64 v[16:17], v[22:23], s[12:13], v[28:29]
	v_fma_f64 v[26:27], v[46:47], s[2:3], v[26:27]
	v_add_f64_e32 v[46:47], v[164:165], v[172:173]
	v_fma_f64 v[93:94], v[146:147], s[14:15], v[93:94]
	v_fma_f64 v[95:96], v[148:149], s[12:13], v[95:96]
	;; [unrolled: 1-line block ×5, first 2 shown]
	s_delay_alu instid0(VALU_DEP_3) | instskip(NEXT) | instid1(VALU_DEP_3)
	v_fma_f64 v[24:25], v[40:41], s[2:3], v[24:25]
	v_fma_f64 v[20:21], v[20:21], s[14:15], v[30:31]
	s_delay_alu instid0(VALU_DEP_2) | instskip(NEXT) | instid1(VALU_DEP_2)
	v_mul_f64_e32 v[32:33], s[24:25], v[24:25]
	v_fma_f64 v[18:19], v[73:74], s[2:3], v[20:21]
	v_fma_f64 v[20:21], v[36:37], s[2:3], v[12:13]
	;; [unrolled: 1-line block ×3, first 2 shown]
	v_add_f64_e32 v[36:37], v[138:139], v[144:145]
	v_add_f64_e32 v[77:78], v[154:155], v[162:163]
	v_fma_f64 v[32:33], v[26:27], s[16:17], v[32:33]
	v_mul_f64_e32 v[14:15], s[26:27], v[18:19]
	v_mul_f64_e32 v[26:27], s[24:25], v[26:27]
	s_delay_alu instid0(VALU_DEP_4) | instskip(NEXT) | instid1(VALU_DEP_3)
	v_fma_f64 v[93:94], v[77:78], s[2:3], v[93:94]
	v_fma_f64 v[16:17], v[12:13], s[12:13], v[14:15]
	v_mul_f64_e32 v[12:13], s[26:27], v[12:13]
	s_delay_alu instid0(VALU_DEP_4)
	v_fma_f64 v[40:41], v[24:25], s[18:19], v[26:27]
	v_add_f64_e32 v[24:25], v[64:65], v[32:33]
	v_add_f64_e64 v[64:65], v[64:65], -v[32:33]
	v_add_f64_e32 v[32:33], v[130:131], v[142:143]
	v_mul_f64_e32 v[97:98], s[16:17], v[93:94]
	v_fma_f64 v[18:19], v[18:19], s[14:15], v[12:13]
	v_add_f64_e32 v[12:13], v[20:21], v[16:17]
	v_add_f64_e64 v[16:17], v[20:21], -v[16:17]
	v_fma_f64 v[20:21], v[148:149], s[16:17], v[89:90]
	v_add_f64_e32 v[26:27], v[66:67], v[40:41]
	v_add_f64_e64 v[66:67], v[66:67], -v[40:41]
	v_add_f64_e32 v[40:41], v[156:157], v[170:171]
	v_add_f64_e32 v[14:15], v[22:23], v[18:19]
	v_add_f64_e64 v[18:19], v[22:23], -v[18:19]
	v_fma_f64 v[22:23], v[146:147], s[18:19], v[87:88]
	v_fma_f64 v[20:21], v[136:137], s[12:13], v[20:21]
	ds_store_b128 v203, v[8:11] offset:16
	ds_store_b128 v203, v[50:53] offset:32
	;; [unrolled: 1-line block ×8, first 2 shown]
	v_mov_b32_e32 v9, v81
	v_fma_f64 v[22:23], v[140:141], s[14:15], v[22:23]
	v_fma_f64 v[20:21], v[40:41], s[2:3], v[20:21]
	s_delay_alu instid0(VALU_DEP_2) | instskip(NEXT) | instid1(VALU_DEP_2)
	v_fma_f64 v[22:23], v[46:47], s[2:3], v[22:23]
	v_mul_f64_e32 v[28:29], s[22:23], v[20:21]
	v_mul_f64_e32 v[20:21], s[14:15], v[20:21]
	s_delay_alu instid0(VALU_DEP_2) | instskip(NEXT) | instid1(VALU_DEP_2)
	v_fma_f64 v[28:29], v[22:23], s[12:13], v[28:29]
	v_fma_f64 v[30:31], v[22:23], s[22:23], v[20:21]
	;; [unrolled: 1-line block ×4, first 2 shown]
	s_delay_alu instid0(VALU_DEP_2) | instskip(NEXT) | instid1(VALU_DEP_2)
	v_fma_f64 v[22:23], v[54:55], s[14:15], v[22:23]
	v_fma_f64 v[20:21], v[48:49], s[12:13], v[20:21]
	s_delay_alu instid0(VALU_DEP_2) | instskip(NEXT) | instid1(VALU_DEP_2)
	v_fma_f64 v[73:74], v[36:37], s[2:3], v[22:23]
	v_fma_f64 v[71:72], v[32:33], s[2:3], v[20:21]
	s_delay_alu instid0(VALU_DEP_2) | instskip(SKIP_2) | instid1(VALU_DEP_4)
	v_add_f64_e32 v[22:23], v[73:74], v[30:31]
	v_add_f64_e64 v[30:31], v[73:74], -v[30:31]
	v_add_f64_e32 v[73:74], v[150:151], v[160:161]
	v_add_f64_e32 v[20:21], v[71:72], v[28:29]
	v_add_f64_e64 v[28:29], v[71:72], -v[28:29]
	v_add_f64_e32 v[71:72], v[128:129], v[134:135]
	s_delay_alu instid0(VALU_DEP_4) | instskip(NEXT) | instid1(VALU_DEP_2)
	v_fma_f64 v[95:96], v[73:74], s[2:3], v[95:96]
	v_fma_f64 v[99:100], v[71:72], s[2:3], v[99:100]
	s_delay_alu instid0(VALU_DEP_2) | instskip(SKIP_1) | instid1(VALU_DEP_1)
	v_fma_f64 v[97:98], v[95:96], s[2:3], v[97:98]
	v_mul_f64_e32 v[95:96], s[18:19], v[95:96]
	v_fma_f64 v[93:94], v[93:94], s[2:3], v[95:96]
	v_fma_f64 v[95:96], v[48:49], s[18:19], v[244:245]
	s_delay_alu instid0(VALU_DEP_2) | instskip(SKIP_2) | instid1(VALU_DEP_4)
	v_add_f64_e32 v[130:131], v[99:100], v[93:94]
	v_add_f64_e64 v[134:135], v[99:100], -v[93:94]
	v_fma_f64 v[93:94], v[48:49], s[16:17], v[244:245]
	v_fma_f64 v[95:96], v[60:61], s[12:13], v[95:96]
	s_delay_alu instid0(VALU_DEP_2) | instskip(NEXT) | instid1(VALU_DEP_2)
	v_fma_f64 v[93:94], v[60:61], s[14:15], v[93:94]
	v_fma_f64 v[95:96], v[69:70], s[2:3], v[95:96]
	;; [unrolled: 1-line block ×4, first 2 shown]
	s_delay_alu instid0(VALU_DEP_4) | instskip(SKIP_1) | instid1(VALU_DEP_4)
	v_fma_f64 v[69:70], v[69:70], s[2:3], v[93:94]
	v_fma_f64 v[93:94], v[54:55], s[18:19], v[242:243]
	;; [unrolled: 1-line block ×3, first 2 shown]
	s_delay_alu instid0(VALU_DEP_4)
	v_fma_f64 v[83:84], v[196:197], s[12:13], v[83:84]
	v_add_f64_e32 v[128:129], v[95:96], v[97:98]
	v_add_f64_e64 v[132:133], v[95:96], -v[97:98]
	v_fma_f64 v[93:94], v[62:63], s[12:13], v[93:94]
	v_fma_f64 v[62:63], v[62:63], s[16:17], v[85:86]
	;; [unrolled: 1-line block ×3, first 2 shown]
	s_delay_alu instid0(VALU_DEP_3) | instskip(SKIP_1) | instid1(VALU_DEP_4)
	v_fma_f64 v[71:72], v[71:72], s[2:3], v[93:94]
	v_fma_f64 v[93:94], v[136:137], s[16:17], v[240:241]
	;; [unrolled: 1-line block ×3, first 2 shown]
	s_delay_alu instid0(VALU_DEP_2) | instskip(NEXT) | instid1(VALU_DEP_2)
	v_fma_f64 v[93:94], v[148:149], s[14:15], v[93:94]
	v_fma_f64 v[36:37], v[36:37], s[2:3], v[54:55]
	s_delay_alu instid0(VALU_DEP_2) | instskip(SKIP_1) | instid1(VALU_DEP_1)
	v_fma_f64 v[73:74], v[73:74], s[2:3], v[93:94]
	v_fma_f64 v[93:94], v[140:141], s[18:19], v[238:239]
	;; [unrolled: 1-line block ×3, first 2 shown]
	s_delay_alu instid0(VALU_DEP_1) | instskip(NEXT) | instid1(VALU_DEP_4)
	v_fma_f64 v[77:78], v[77:78], s[2:3], v[93:94]
	v_mul_f64_e32 v[93:94], s[24:25], v[73:74]
	s_delay_alu instid0(VALU_DEP_1) | instskip(SKIP_1) | instid1(VALU_DEP_2)
	v_fma_f64 v[93:94], v[77:78], s[16:17], v[93:94]
	v_mul_f64_e32 v[77:78], s[24:25], v[77:78]
	v_add_f64_e32 v[142:143], v[69:70], v[93:94]
	s_delay_alu instid0(VALU_DEP_2) | instskip(SKIP_3) | instid1(VALU_DEP_4)
	v_fma_f64 v[73:74], v[73:74], s[18:19], v[77:78]
	v_add_f64_e64 v[154:155], v[69:70], -v[93:94]
	v_fma_f64 v[69:70], v[148:149], s[18:19], v[89:90]
	v_fma_f64 v[77:78], v[168:169], s[18:19], v[206:207]
	v_add_f64_e32 v[144:145], v[71:72], v[73:74]
	v_add_f64_e64 v[156:157], v[71:72], -v[73:74]
	v_fma_f64 v[71:72], v[146:147], s[16:17], v[87:88]
	v_fma_f64 v[69:70], v[136:137], s[14:15], v[69:70]
	;; [unrolled: 1-line block ×4, first 2 shown]
	s_delay_alu instid0(VALU_DEP_4) | instskip(NEXT) | instid1(VALU_DEP_4)
	v_fma_f64 v[60:61], v[140:141], s[12:13], v[71:72]
	v_fma_f64 v[40:41], v[40:41], s[2:3], v[69:70]
	v_add_f64_e32 v[69:70], v[79:80], v[226:227]
	v_add_f64_e32 v[71:72], v[216:217], v[228:229]
	v_fma_f64 v[79:80], v[188:189], s[16:17], v[34:35]
	v_fma_f64 v[87:88], v[168:169], s[14:15], v[87:88]
	;; [unrolled: 1-line block ×4, first 2 shown]
	v_mul_f64_e32 v[48:49], s[26:27], v[40:41]
	v_fma_f64 v[79:80], v[194:195], s[14:15], v[79:80]
	s_delay_alu instid0(VALU_DEP_4) | instskip(NEXT) | instid1(VALU_DEP_3)
	v_fma_f64 v[34:35], v[194:195], s[12:13], v[34:35]
	v_fma_f64 v[54:55], v[46:47], s[12:13], v[48:49]
	v_mul_f64_e32 v[46:47], s[26:27], v[46:47]
	s_delay_alu instid0(VALU_DEP_2) | instskip(NEXT) | instid1(VALU_DEP_2)
	v_add_f64_e64 v[60:61], v[32:33], -v[54:55]
	v_fma_f64 v[40:41], v[40:41], s[14:15], v[46:47]
	v_add_f64_e32 v[46:47], v[32:33], v[54:55]
	v_fma_f64 v[32:33], v[196:197], s[16:17], v[214:215]
	v_add_f64_e32 v[54:55], v[186:187], v[192:193]
	s_delay_alu instid0(VALU_DEP_4) | instskip(SKIP_1) | instid1(VALU_DEP_4)
	v_add_f64_e32 v[48:49], v[36:37], v[40:41]
	v_add_f64_e64 v[62:63], v[36:37], -v[40:41]
	v_fma_f64 v[32:33], v[180:181], s[12:13], v[32:33]
	v_fma_f64 v[36:37], v[194:195], s[18:19], v[212:213]
	v_add_f64_e32 v[40:41], v[178:179], v[190:191]
	v_fma_f64 v[77:78], v[54:55], s[2:3], v[77:78]
	s_delay_alu instid0(VALU_DEP_4) | instskip(NEXT) | instid1(VALU_DEP_4)
	v_fma_f64 v[32:33], v[69:70], s[2:3], v[32:33]
	v_fma_f64 v[36:37], v[188:189], s[14:15], v[36:37]
	s_delay_alu instid0(VALU_DEP_2) | instskip(NEXT) | instid1(VALU_DEP_2)
	v_mul_f64_e32 v[73:74], s[22:23], v[32:33]
	v_fma_f64 v[36:37], v[71:72], s[2:3], v[36:37]
	v_mul_f64_e32 v[32:33], s[14:15], v[32:33]
	s_delay_alu instid0(VALU_DEP_2) | instskip(NEXT) | instid1(VALU_DEP_2)
	v_fma_f64 v[73:74], v[36:37], s[12:13], v[73:74]
	v_fma_f64 v[32:33], v[36:37], s[22:23], v[32:33]
	;; [unrolled: 1-line block ×3, first 2 shown]
	s_delay_alu instid0(VALU_DEP_2) | instskip(NEXT) | instid1(VALU_DEP_2)
	v_add_f64_e32 v[138:139], v[77:78], v[32:33]
	v_fma_f64 v[36:37], v[152:153], s[12:13], v[36:37]
	v_add_f64_e64 v[148:149], v[77:78], -v[32:33]
	v_add_f64_e32 v[77:78], v[200:201], v[210:211]
	v_add_f64_e32 v[32:33], v[174:175], v[182:183]
	s_delay_alu instid0(VALU_DEP_4) | instskip(NEXT) | instid1(VALU_DEP_3)
	v_fma_f64 v[36:37], v[40:41], s[2:3], v[36:37]
	v_fma_f64 v[79:80], v[77:78], s[2:3], v[79:80]
	;; [unrolled: 1-line block ×4, first 2 shown]
	s_delay_alu instid0(VALU_DEP_4)
	v_add_f64_e32 v[136:137], v[36:37], v[73:74]
	v_add_f64_e64 v[146:147], v[36:37], -v[73:74]
	v_add_f64_e32 v[73:74], v[198:199], v[208:209]
	v_mul_f64_e32 v[85:86], s[16:17], v[79:80]
	v_add_f64_e32 v[36:37], v[176:177], v[184:185]
	v_fma_f64 v[77:78], v[158:159], s[12:13], v[77:78]
	s_delay_alu instid0(VALU_DEP_4) | instskip(NEXT) | instid1(VALU_DEP_3)
	v_fma_f64 v[83:84], v[73:74], s[2:3], v[83:84]
	v_fma_f64 v[87:88], v[36:37], s[2:3], v[87:88]
	s_delay_alu instid0(VALU_DEP_3) | instskip(SKIP_1) | instid1(VALU_DEP_4)
	v_fma_f64 v[54:55], v[54:55], s[2:3], v[77:78]
	v_add_nc_u32_e32 v78, 10, v9
	v_fma_f64 v[85:86], v[83:84], s[2:3], v[85:86]
	v_mul_f64_e32 v[83:84], s[18:19], v[83:84]
	s_delay_alu instid0(VALU_DEP_1) | instskip(SKIP_1) | instid1(VALU_DEP_2)
	v_fma_f64 v[79:80], v[79:80], s[2:3], v[83:84]
	v_fma_f64 v[83:84], v[152:153], s[18:19], v[91:92]
	v_add_f64_e32 v[162:163], v[87:88], v[79:80]
	v_add_f64_e64 v[172:173], v[87:88], -v[79:80]
	v_fma_f64 v[79:80], v[152:153], s[16:17], v[91:92]
	s_delay_alu instid0(VALU_DEP_4) | instskip(NEXT) | instid1(VALU_DEP_2)
	v_fma_f64 v[83:84], v[166:167], s[12:13], v[83:84]
	v_fma_f64 v[79:80], v[166:167], s[14:15], v[79:80]
	s_delay_alu instid0(VALU_DEP_2) | instskip(NEXT) | instid1(VALU_DEP_2)
	v_fma_f64 v[83:84], v[32:33], s[2:3], v[83:84]
	v_fma_f64 v[79:80], v[32:33], s[2:3], v[79:80]
	;; [unrolled: 1-line block ×3, first 2 shown]
	s_delay_alu instid0(VALU_DEP_3) | instskip(SKIP_1) | instid1(VALU_DEP_3)
	v_add_f64_e32 v[160:161], v[83:84], v[85:86]
	v_add_f64_e64 v[170:171], v[83:84], -v[85:86]
	v_fma_f64 v[32:33], v[168:169], s[12:13], v[32:33]
	s_delay_alu instid0(VALU_DEP_1) | instskip(SKIP_1) | instid1(VALU_DEP_1)
	v_fma_f64 v[75:76], v[36:37], s[2:3], v[32:33]
	v_fma_f64 v[32:33], v[180:181], s[16:17], v[38:39]
	;; [unrolled: 1-line block ×3, first 2 shown]
	s_delay_alu instid0(VALU_DEP_1) | instskip(SKIP_1) | instid1(VALU_DEP_2)
	v_fma_f64 v[32:33], v[73:74], s[2:3], v[32:33]
	v_fma_f64 v[73:74], v[196:197], s[18:19], v[214:215]
	v_mul_f64_e32 v[36:37], s[24:25], v[32:33]
	s_delay_alu instid0(VALU_DEP_2) | instskip(NEXT) | instid1(VALU_DEP_2)
	v_fma_f64 v[73:74], v[180:181], s[14:15], v[73:74]
	v_fma_f64 v[36:37], v[34:35], s[16:17], v[36:37]
	v_mul_f64_e32 v[34:35], s[24:25], v[34:35]
	s_delay_alu instid0(VALU_DEP_3) | instskip(NEXT) | instid1(VALU_DEP_2)
	v_fma_f64 v[69:70], v[69:70], s[2:3], v[73:74]
	v_fma_f64 v[38:39], v[32:33], s[18:19], v[34:35]
	s_delay_alu instid0(VALU_DEP_4)
	v_add_f64_e32 v[32:33], v[79:80], v[36:37]
	v_add_f64_e64 v[36:37], v[79:80], -v[36:37]
	v_fma_f64 v[79:80], v[194:195], s[16:17], v[212:213]
	v_mul_f64_e32 v[73:74], s[26:27], v[69:70]
	v_add_f64_e32 v[34:35], v[75:76], v[38:39]
	v_add_f64_e64 v[38:39], v[75:76], -v[38:39]
	v_fma_f64 v[75:76], v[166:167], s[18:19], v[204:205]
	v_fma_f64 v[79:80], v[188:189], s[12:13], v[79:80]
	s_delay_alu instid0(VALU_DEP_2) | instskip(NEXT) | instid1(VALU_DEP_2)
	v_fma_f64 v[75:76], v[152:153], s[14:15], v[75:76]
	v_fma_f64 v[71:72], v[71:72], s[2:3], v[79:80]
	v_dual_mov_b32 v80, v101 :: v_dual_add_nc_u32 v79, 5, v9
	s_delay_alu instid0(VALU_DEP_1) | instskip(NEXT) | instid1(VALU_DEP_1)
	v_mul_u32_u24_e32 v8, 10, v79
	v_lshl_add_u32 v81, v8, 4, v80
	ds_store_b128 v81, v[120:123]
	ds_store_b128 v81, v[20:23] offset:16
	ds_store_b128 v81, v[128:131] offset:32
	;; [unrolled: 1-line block ×9, first 2 shown]
	v_mul_u32_u24_e32 v4, 10, v78
	v_lshlrev_b32_e32 v6, 6, v9
	s_delay_alu instid0(VALU_DEP_2) | instskip(SKIP_3) | instid1(VALU_DEP_2)
	v_lshl_add_u32 v83, v4, 4, v80
	v_fma_f64 v[40:41], v[40:41], s[2:3], v[75:76]
	v_fma_f64 v[73:74], v[71:72], s[12:13], v[73:74]
	v_mul_f64_e32 v[71:72], s[26:27], v[71:72]
	v_add_f64_e32 v[150:151], v[40:41], v[73:74]
	s_delay_alu instid0(VALU_DEP_2) | instskip(SKIP_1) | instid1(VALU_DEP_2)
	v_fma_f64 v[69:70], v[69:70], s[14:15], v[71:72]
	v_add_f64_e64 v[164:165], v[40:41], -v[73:74]
	v_add_f64_e32 v[152:153], v[54:55], v[69:70]
	v_add_f64_e64 v[166:167], v[54:55], -v[69:70]
	ds_store_b128 v83, v[0:3]
	ds_store_b128 v83, v[136:139] offset:16
	ds_store_b128 v83, v[160:163] offset:32
	;; [unrolled: 1-line block ×9, first 2 shown]
	global_wb scope:SCOPE_SE
	s_wait_dscnt 0x0
	s_barrier_signal -1
	s_barrier_wait -1
	global_inv scope:SCOPE_SE
	s_clause 0x3
	global_load_b128 v[199:202], v6, s[10:11]
	global_load_b128 v[148:151], v6, s[10:11] offset:16
	global_load_b128 v[144:147], v6, s[10:11] offset:32
	;; [unrolled: 1-line block ×3, first 2 shown]
	ds_load_b128 v[0:3], v68 offset:480
	v_lshlrev_b32_e32 v6, 6, v79
	v_add_co_u32 v71, null, v9, 20
	v_mov_b32_e32 v74, v9
	v_add_co_u32 v212, null, v9, 25
	s_clause 0x3
	global_load_b128 v[168:171], v6, s[10:11] offset:48
	global_load_b128 v[156:159], v6, s[10:11]
	global_load_b128 v[160:163], v6, s[10:11] offset:16
	global_load_b128 v[164:167], v6, s[10:11] offset:32
	ds_load_b128 v[8:11], v68
	ds_load_b128 v[191:194], v68 offset:160
	ds_load_b128 v[217:220], v68 offset:240
	scratch_store_b32 off, v74, off offset:528 ; 4-byte Folded Spill
	s_wait_loadcnt_dscnt 0x703
	v_mul_f64_e32 v[4:5], v[2:3], v[201:202]
	s_delay_alu instid0(VALU_DEP_1) | instskip(SKIP_1) | instid1(VALU_DEP_1)
	v_fma_f64 v[12:13], v[0:1], v[199:200], -v[4:5]
	v_mul_f64_e32 v[0:1], v[0:1], v[201:202]
	v_fma_f64 v[14:15], v[2:3], v[199:200], v[0:1]
	ds_load_b128 v[0:3], v68 offset:960
	s_wait_loadcnt_dscnt 0x600
	v_mul_f64_e32 v[4:5], v[2:3], v[150:151]
	s_delay_alu instid0(VALU_DEP_1) | instskip(SKIP_1) | instid1(VALU_DEP_1)
	v_fma_f64 v[16:17], v[0:1], v[148:149], -v[4:5]
	v_mul_f64_e32 v[0:1], v[0:1], v[150:151]
	v_fma_f64 v[18:19], v[2:3], v[148:149], v[0:1]
	ds_load_b128 v[0:3], v68 offset:1440
	s_wait_loadcnt_dscnt 0x500
	v_mul_f64_e32 v[4:5], v[2:3], v[146:147]
	s_delay_alu instid0(VALU_DEP_1) | instskip(SKIP_1) | instid1(VALU_DEP_2)
	v_fma_f64 v[20:21], v[0:1], v[144:145], -v[4:5]
	v_mul_f64_e32 v[0:1], v[0:1], v[146:147]
	v_add_f64_e64 v[106:107], v[16:17], -v[20:21]
	s_delay_alu instid0(VALU_DEP_2) | instskip(SKIP_4) | instid1(VALU_DEP_2)
	v_fma_f64 v[22:23], v[2:3], v[144:145], v[0:1]
	ds_load_b128 v[0:3], v68 offset:1920
	s_wait_loadcnt_dscnt 0x400
	v_mul_f64_e32 v[4:5], v[2:3], v[142:143]
	v_add_f64_e64 v[102:103], v[18:19], -v[22:23]
	v_fma_f64 v[24:25], v[0:1], v[140:141], -v[4:5]
	v_mul_f64_e32 v[0:1], v[0:1], v[142:143]
	s_delay_alu instid0(VALU_DEP_2) | instskip(NEXT) | instid1(VALU_DEP_2)
	v_add_f64_e64 v[104:105], v[12:13], -v[24:25]
	v_fma_f64 v[26:27], v[2:3], v[140:141], v[0:1]
	ds_load_b128 v[0:3], v68 offset:560
	s_wait_loadcnt_dscnt 0x200
	v_mul_f64_e32 v[4:5], v[2:3], v[158:159]
	v_add_f64_e64 v[100:101], v[14:15], -v[26:27]
	s_delay_alu instid0(VALU_DEP_2) | instskip(SKIP_1) | instid1(VALU_DEP_1)
	v_fma_f64 v[32:33], v[0:1], v[156:157], -v[4:5]
	v_mul_f64_e32 v[0:1], v[0:1], v[158:159]
	v_fma_f64 v[34:35], v[2:3], v[156:157], v[0:1]
	ds_load_b128 v[0:3], v68 offset:1040
	s_wait_loadcnt_dscnt 0x100
	v_mul_f64_e32 v[4:5], v[2:3], v[162:163]
	s_delay_alu instid0(VALU_DEP_1) | instskip(SKIP_1) | instid1(VALU_DEP_1)
	v_fma_f64 v[36:37], v[0:1], v[160:161], -v[4:5]
	v_mul_f64_e32 v[0:1], v[0:1], v[162:163]
	v_fma_f64 v[38:39], v[2:3], v[160:161], v[0:1]
	ds_load_b128 v[0:3], v68 offset:1520
	s_wait_loadcnt_dscnt 0x0
	v_mul_f64_e32 v[4:5], v[2:3], v[166:167]
	s_delay_alu instid0(VALU_DEP_1) | instskip(SKIP_1) | instid1(VALU_DEP_2)
	v_fma_f64 v[40:41], v[0:1], v[164:165], -v[4:5]
	v_mul_f64_e32 v[0:1], v[0:1], v[166:167]
	v_add_f64_e64 v[110:111], v[36:37], -v[40:41]
	s_delay_alu instid0(VALU_DEP_2) | instskip(SKIP_3) | instid1(VALU_DEP_1)
	v_fma_f64 v[72:73], v[2:3], v[164:165], v[0:1]
	ds_load_b128 v[0:3], v68 offset:2000
	s_wait_dscnt 0x0
	v_mul_f64_e32 v[4:5], v[2:3], v[170:171]
	v_fma_f64 v[42:43], v[0:1], v[168:169], -v[4:5]
	v_mul_f64_e32 v[0:1], v[0:1], v[170:171]
	s_delay_alu instid0(VALU_DEP_2) | instskip(NEXT) | instid1(VALU_DEP_2)
	v_add_f64_e64 v[108:109], v[32:33], -v[42:43]
	v_fma_f64 v[76:77], v[2:3], v[168:169], v[0:1]
	ds_load_b128 v[0:3], v68 offset:640
	s_wait_dscnt 0x0
	v_mul_f64_e32 v[4:5], v[2:3], v[201:202]
	s_delay_alu instid0(VALU_DEP_1) | instskip(SKIP_1) | instid1(VALU_DEP_1)
	v_fma_f64 v[84:85], v[0:1], v[199:200], -v[4:5]
	v_mul_f64_e32 v[0:1], v[0:1], v[201:202]
	v_fma_f64 v[86:87], v[2:3], v[199:200], v[0:1]
	ds_load_b128 v[0:3], v68 offset:1120
	s_wait_dscnt 0x0
	v_mul_f64_e32 v[4:5], v[2:3], v[150:151]
	s_delay_alu instid0(VALU_DEP_1) | instskip(SKIP_1) | instid1(VALU_DEP_1)
	v_fma_f64 v[88:89], v[0:1], v[148:149], -v[4:5]
	v_mul_f64_e32 v[0:1], v[0:1], v[150:151]
	v_fma_f64 v[90:91], v[2:3], v[148:149], v[0:1]
	ds_load_b128 v[0:3], v68 offset:1600
	s_wait_dscnt 0x0
	v_mul_f64_e32 v[4:5], v[2:3], v[146:147]
	s_delay_alu instid0(VALU_DEP_1) | instskip(SKIP_1) | instid1(VALU_DEP_1)
	v_fma_f64 v[92:93], v[0:1], v[144:145], -v[4:5]
	v_mul_f64_e32 v[0:1], v[0:1], v[146:147]
	v_fma_f64 v[94:95], v[2:3], v[144:145], v[0:1]
	ds_load_b128 v[0:3], v68 offset:2080
	s_wait_dscnt 0x0
	v_mul_f64_e32 v[4:5], v[2:3], v[142:143]
	s_delay_alu instid0(VALU_DEP_1) | instskip(SKIP_1) | instid1(VALU_DEP_1)
	v_fma_f64 v[96:97], v[0:1], v[140:141], -v[4:5]
	v_mul_f64_e32 v[0:1], v[0:1], v[142:143]
	v_fma_f64 v[98:99], v[2:3], v[140:141], v[0:1]
	ds_load_b128 v[0:3], v68 offset:720
	s_wait_dscnt 0x0
	v_mul_f64_e32 v[4:5], v[2:3], v[158:159]
	s_delay_alu instid0(VALU_DEP_1) | instskip(SKIP_1) | instid1(VALU_DEP_1)
	v_fma_f64 v[176:177], v[0:1], v[156:157], -v[4:5]
	v_mul_f64_e32 v[0:1], v[0:1], v[158:159]
	v_fma_f64 v[174:175], v[2:3], v[156:157], v[0:1]
	ds_load_b128 v[0:3], v68 offset:1200
	s_wait_dscnt 0x0
	v_mul_f64_e32 v[4:5], v[2:3], v[162:163]
	s_delay_alu instid0(VALU_DEP_1) | instskip(SKIP_1) | instid1(VALU_DEP_1)
	v_fma_f64 v[184:185], v[0:1], v[160:161], -v[4:5]
	v_mul_f64_e32 v[0:1], v[0:1], v[162:163]
	v_fma_f64 v[178:179], v[2:3], v[160:161], v[0:1]
	ds_load_b128 v[0:3], v68 offset:1680
	s_wait_dscnt 0x0
	v_mul_f64_e32 v[4:5], v[2:3], v[166:167]
	s_delay_alu instid0(VALU_DEP_1) | instskip(SKIP_1) | instid1(VALU_DEP_1)
	v_fma_f64 v[182:183], v[0:1], v[164:165], -v[4:5]
	v_mul_f64_e32 v[0:1], v[0:1], v[166:167]
	v_fma_f64 v[180:181], v[2:3], v[164:165], v[0:1]
	ds_load_b128 v[0:3], v68 offset:2160
	s_wait_dscnt 0x0
	v_mul_f64_e32 v[4:5], v[2:3], v[170:171]
	s_delay_alu instid0(VALU_DEP_1) | instskip(SKIP_1) | instid1(VALU_DEP_1)
	v_fma_f64 v[186:187], v[0:1], v[168:169], -v[4:5]
	v_mul_f64_e32 v[0:1], v[0:1], v[170:171]
	v_fma_f64 v[188:189], v[2:3], v[168:169], v[0:1]
	v_and_b32_e32 v0, 0xff, v71
	s_delay_alu instid0(VALU_DEP_1) | instskip(NEXT) | instid1(VALU_DEP_1)
	v_mul_lo_u16 v0, 0xcd, v0
	v_lshrrev_b16 v0, 11, v0
	s_delay_alu instid0(VALU_DEP_1) | instskip(NEXT) | instid1(VALU_DEP_1)
	v_mul_lo_u16 v0, v0, 10
	v_sub_nc_u16 v75, v71, v0
	s_delay_alu instid0(VALU_DEP_1) | instskip(NEXT) | instid1(VALU_DEP_1)
	v_lshlrev_b16 v0, 2, v75
	v_and_b32_e32 v0, 0xfc, v0
	s_delay_alu instid0(VALU_DEP_1)
	v_lshlrev_b32_e32 v6, 4, v0
	ds_load_b128 v[0:3], v68 offset:800
	global_load_b128 v[28:31], v6, s[10:11]
	s_wait_loadcnt_dscnt 0x0
	v_mul_f64_e32 v[4:5], v[2:3], v[30:31]
	scratch_store_b128 off, v[28:31], off offset:496 ; 16-byte Folded Spill
	v_fma_f64 v[62:63], v[0:1], v[28:29], -v[4:5]
	v_mul_f64_e32 v[0:1], v[0:1], v[30:31]
	s_delay_alu instid0(VALU_DEP_1)
	v_fma_f64 v[60:61], v[2:3], v[28:29], v[0:1]
	global_load_b128 v[28:31], v6, s[10:11] offset:16
	ds_load_b128 v[0:3], v68 offset:1280
	s_wait_loadcnt_dscnt 0x0
	v_mul_f64_e32 v[4:5], v[2:3], v[30:31]
	scratch_store_b128 off, v[28:31], off offset:512 ; 16-byte Folded Spill
	v_fma_f64 v[69:70], v[0:1], v[28:29], -v[4:5]
	v_mul_f64_e32 v[0:1], v[0:1], v[30:31]
	s_delay_alu instid0(VALU_DEP_1)
	v_fma_f64 v[64:65], v[2:3], v[28:29], v[0:1]
	global_load_b128 v[28:31], v6, s[10:11] offset:32
	ds_load_b128 v[0:3], v68 offset:1760
	;; [unrolled: 9-line block ×3, first 2 shown]
	s_wait_loadcnt_dscnt 0x0
	v_mul_f64_e32 v[4:5], v[2:3], v[30:31]
	scratch_store_b128 off, v[28:31], off offset:548 ; 16-byte Folded Spill
	v_fma_f64 v[154:155], v[0:1], v[28:29], -v[4:5]
	v_mul_f64_e32 v[0:1], v[0:1], v[30:31]
	s_delay_alu instid0(VALU_DEP_1) | instskip(SKIP_1) | instid1(VALU_DEP_1)
	v_fma_f64 v[172:173], v[2:3], v[28:29], v[0:1]
	v_and_b32_e32 v0, 0xff, v212
	v_mul_lo_u16 v0, 0xcd, v0
	s_delay_alu instid0(VALU_DEP_1) | instskip(NEXT) | instid1(VALU_DEP_1)
	v_lshrrev_b16 v0, 11, v0
	v_mul_lo_u16 v0, v0, 10
	s_delay_alu instid0(VALU_DEP_1) | instskip(NEXT) | instid1(VALU_DEP_1)
	v_sub_nc_u16 v190, v212, v0
	v_lshlrev_b16 v0, 2, v190
	s_delay_alu instid0(VALU_DEP_1) | instskip(NEXT) | instid1(VALU_DEP_1)
	v_and_b32_e32 v0, 0xfc, v0
	v_lshlrev_b32_e32 v6, 4, v0
	ds_load_b128 v[0:3], v68 offset:880
	s_clause 0x3
	global_load_b128 v[204:207], v6, s[10:11]
	global_load_b128 v[232:235], v6, s[10:11] offset:16
	global_load_b128 v[236:239], v6, s[10:11] offset:32
	;; [unrolled: 1-line block ×3, first 2 shown]
	s_wait_loadcnt_dscnt 0x300
	v_mul_f64_e32 v[4:5], v[2:3], v[206:207]
	s_delay_alu instid0(VALU_DEP_1) | instskip(SKIP_1) | instid1(VALU_DEP_1)
	v_fma_f64 v[46:47], v[0:1], v[204:205], -v[4:5]
	v_mul_f64_e32 v[0:1], v[0:1], v[206:207]
	v_fma_f64 v[44:45], v[2:3], v[204:205], v[0:1]
	ds_load_b128 v[0:3], v68 offset:1360
	s_wait_loadcnt_dscnt 0x200
	v_mul_f64_e32 v[4:5], v[2:3], v[234:235]
	s_delay_alu instid0(VALU_DEP_1) | instskip(SKIP_1) | instid1(VALU_DEP_1)
	v_fma_f64 v[54:55], v[0:1], v[232:233], -v[4:5]
	v_mul_f64_e32 v[0:1], v[0:1], v[234:235]
	v_fma_f64 v[48:49], v[2:3], v[232:233], v[0:1]
	ds_load_b128 v[0:3], v68 offset:1840
	s_wait_loadcnt_dscnt 0x100
	v_mul_f64_e32 v[4:5], v[2:3], v[238:239]
	s_delay_alu instid0(VALU_DEP_1) | instskip(SKIP_1) | instid1(VALU_DEP_1)
	v_fma_f64 v[52:53], v[0:1], v[236:237], -v[4:5]
	v_mul_f64_e32 v[0:1], v[0:1], v[238:239]
	v_fma_f64 v[50:51], v[2:3], v[236:237], v[0:1]
	ds_load_b128 v[0:3], v68 offset:2320
	s_wait_loadcnt_dscnt 0x0
	v_mul_f64_e32 v[4:5], v[2:3], v[242:243]
	s_delay_alu instid0(VALU_DEP_1) | instskip(SKIP_1) | instid1(VALU_DEP_1)
	v_fma_f64 v[56:57], v[0:1], v[240:241], -v[4:5]
	v_mul_f64_e32 v[0:1], v[0:1], v[242:243]
	v_fma_f64 v[58:59], v[2:3], v[240:241], v[0:1]
	v_add_f64_e64 v[0:1], v[12:13], -v[16:17]
	v_add_f64_e64 v[2:3], v[24:25], -v[20:21]
	s_delay_alu instid0(VALU_DEP_1) | instskip(SKIP_2) | instid1(VALU_DEP_1)
	v_add_f64_e32 v[4:5], v[0:1], v[2:3]
	v_add_f64_e64 v[0:1], v[14:15], -v[18:19]
	v_add_f64_e64 v[2:3], v[26:27], -v[22:23]
	v_add_f64_e32 v[6:7], v[0:1], v[2:3]
	v_add_f64_e32 v[0:1], v[16:17], v[20:21]
	s_delay_alu instid0(VALU_DEP_1) | instskip(SKIP_1) | instid1(VALU_DEP_1)
	v_fma_f64 v[28:29], v[0:1], -0.5, v[8:9]
	v_add_f64_e32 v[0:1], v[18:19], v[22:23]
	v_fma_f64 v[30:31], v[0:1], -0.5, v[10:11]
	s_delay_alu instid0(VALU_DEP_3) | instskip(SKIP_1) | instid1(VALU_DEP_3)
	v_fma_f64 v[0:1], v[100:101], s[16:17], v[28:29]
	v_fma_f64 v[28:29], v[100:101], s[18:19], v[28:29]
	;; [unrolled: 1-line block ×4, first 2 shown]
	s_delay_alu instid0(VALU_DEP_4) | instskip(NEXT) | instid1(VALU_DEP_4)
	v_fma_f64 v[0:1], v[102:103], s[12:13], v[0:1]
	v_fma_f64 v[28:29], v[102:103], s[14:15], v[28:29]
	s_delay_alu instid0(VALU_DEP_4) | instskip(NEXT) | instid1(VALU_DEP_4)
	v_fma_f64 v[2:3], v[106:107], s[14:15], v[2:3]
	v_fma_f64 v[30:31], v[106:107], s[12:13], v[30:31]
	;; [unrolled: 3-line block ×3, first 2 shown]
	v_add_f64_e32 v[28:29], v[12:13], v[24:25]
	v_fma_f64 v[2:3], v[6:7], s[2:3], v[2:3]
	v_fma_f64 v[6:7], v[6:7], s[2:3], v[30:31]
	v_add_f64_e32 v[30:31], v[14:15], v[26:27]
	s_delay_alu instid0(VALU_DEP_4) | instskip(SKIP_2) | instid1(VALU_DEP_4)
	v_fma_f64 v[28:29], v[28:29], -0.5, v[8:9]
	v_add_f64_e32 v[8:9], v[8:9], v[12:13]
	v_add_f64_e64 v[12:13], v[16:17], -v[12:13]
	v_fma_f64 v[30:31], v[30:31], -0.5, v[10:11]
	v_add_f64_e32 v[10:11], v[10:11], v[14:15]
	v_add_f64_e64 v[14:15], v[18:19], -v[14:15]
	v_add_f64_e32 v[8:9], v[8:9], v[16:17]
	s_delay_alu instid0(VALU_DEP_3) | instskip(NEXT) | instid1(VALU_DEP_2)
	v_add_f64_e32 v[10:11], v[10:11], v[18:19]
	v_add_f64_e32 v[8:9], v[8:9], v[20:21]
	v_add_f64_e64 v[20:21], v[20:21], -v[24:25]
	s_delay_alu instid0(VALU_DEP_3) | instskip(NEXT) | instid1(VALU_DEP_3)
	v_add_f64_e32 v[10:11], v[10:11], v[22:23]
	v_add_f64_e32 v[16:17], v[8:9], v[24:25]
	v_add_f64_e64 v[8:9], v[22:23], -v[26:27]
	v_fma_f64 v[22:23], v[102:103], s[16:17], v[28:29]
	v_add_f64_e32 v[20:21], v[12:13], v[20:21]
	v_fma_f64 v[24:25], v[106:107], s[16:17], v[30:31]
	v_add_f64_e32 v[18:19], v[10:11], v[26:27]
	v_fma_f64 v[10:11], v[102:103], s[18:19], v[28:29]
	v_fma_f64 v[26:27], v[106:107], s[18:19], v[30:31]
	v_add_f64_e32 v[28:29], v[14:15], v[8:9]
	v_add_f64_e64 v[106:107], v[38:39], -v[72:73]
	v_fma_f64 v[14:15], v[104:105], s[14:15], v[24:25]
	v_fma_f64 v[8:9], v[100:101], s[12:13], v[10:11]
	;; [unrolled: 1-line block ×4, first 2 shown]
	v_add_f64_e64 v[104:105], v[34:35], -v[76:77]
	v_fma_f64 v[14:15], v[28:29], s[2:3], v[14:15]
	v_fma_f64 v[12:13], v[20:21], s[2:3], v[8:9]
	;; [unrolled: 1-line block ×4, first 2 shown]
	v_add_f64_e64 v[20:21], v[32:33], -v[36:37]
	v_add_f64_e64 v[22:23], v[42:43], -v[40:41]
	ds_load_b128 v[28:31], v68 offset:80
	v_add_f64_e32 v[24:25], v[20:21], v[22:23]
	v_add_f64_e64 v[20:21], v[34:35], -v[38:39]
	v_add_f64_e64 v[22:23], v[76:77], -v[72:73]
	s_delay_alu instid0(VALU_DEP_1) | instskip(SKIP_2) | instid1(VALU_DEP_1)
	v_add_f64_e32 v[26:27], v[20:21], v[22:23]
	v_add_f64_e32 v[20:21], v[36:37], v[40:41]
	s_wait_dscnt 0x0
	v_fma_f64 v[100:101], v[20:21], -0.5, v[28:29]
	v_add_f64_e32 v[20:21], v[38:39], v[72:73]
	s_delay_alu instid0(VALU_DEP_1) | instskip(NEXT) | instid1(VALU_DEP_3)
	v_fma_f64 v[102:103], v[20:21], -0.5, v[30:31]
	v_fma_f64 v[20:21], v[104:105], s[16:17], v[100:101]
	v_fma_f64 v[100:101], v[104:105], s[18:19], v[100:101]
	s_delay_alu instid0(VALU_DEP_3) | instskip(SKIP_1) | instid1(VALU_DEP_4)
	v_fma_f64 v[22:23], v[108:109], s[18:19], v[102:103]
	v_fma_f64 v[102:103], v[108:109], s[16:17], v[102:103]
	;; [unrolled: 1-line block ×3, first 2 shown]
	s_delay_alu instid0(VALU_DEP_4) | instskip(NEXT) | instid1(VALU_DEP_4)
	v_fma_f64 v[100:101], v[106:107], s[14:15], v[100:101]
	v_fma_f64 v[22:23], v[110:111], s[14:15], v[22:23]
	s_delay_alu instid0(VALU_DEP_4) | instskip(NEXT) | instid1(VALU_DEP_4)
	v_fma_f64 v[102:103], v[110:111], s[12:13], v[102:103]
	v_fma_f64 v[20:21], v[24:25], s[2:3], v[20:21]
	s_delay_alu instid0(VALU_DEP_4) | instskip(SKIP_4) | instid1(VALU_DEP_4)
	v_fma_f64 v[24:25], v[24:25], s[2:3], v[100:101]
	v_add_f64_e32 v[100:101], v[32:33], v[42:43]
	v_fma_f64 v[22:23], v[26:27], s[2:3], v[22:23]
	v_fma_f64 v[26:27], v[26:27], s[2:3], v[102:103]
	v_add_f64_e32 v[102:103], v[34:35], v[76:77]
	v_fma_f64 v[100:101], v[100:101], -0.5, v[28:29]
	v_add_f64_e32 v[28:29], v[28:29], v[32:33]
	v_add_f64_e64 v[32:33], v[36:37], -v[32:33]
	s_delay_alu instid0(VALU_DEP_4) | instskip(SKIP_4) | instid1(VALU_DEP_4)
	v_fma_f64 v[102:103], v[102:103], -0.5, v[30:31]
	v_add_f64_e32 v[30:31], v[30:31], v[34:35]
	v_add_f64_e64 v[34:35], v[38:39], -v[34:35]
	v_add_f64_e32 v[28:29], v[28:29], v[36:37]
	v_add_f64_e64 v[36:37], v[40:41], -v[42:43]
	v_add_f64_e32 v[30:31], v[30:31], v[38:39]
	v_fma_f64 v[38:39], v[106:107], s[16:17], v[100:101]
	s_delay_alu instid0(VALU_DEP_4) | instskip(NEXT) | instid1(VALU_DEP_4)
	v_add_f64_e32 v[28:29], v[28:29], v[40:41]
	v_add_f64_e32 v[36:37], v[32:33], v[36:37]
	s_delay_alu instid0(VALU_DEP_4) | instskip(NEXT) | instid1(VALU_DEP_3)
	v_add_f64_e32 v[30:31], v[30:31], v[72:73]
	v_add_f64_e32 v[40:41], v[28:29], v[42:43]
	v_add_f64_e64 v[28:29], v[72:73], -v[76:77]
	v_fma_f64 v[72:73], v[110:111], s[16:17], v[102:103]
	s_delay_alu instid0(VALU_DEP_4)
	v_add_f64_e32 v[42:43], v[30:31], v[76:77]
	v_fma_f64 v[30:31], v[106:107], s[18:19], v[100:101]
	v_fma_f64 v[76:77], v[110:111], s[18:19], v[102:103]
	v_add_f64_e32 v[100:101], v[34:35], v[28:29]
	v_fma_f64 v[34:35], v[108:109], s[14:15], v[72:73]
	v_add_f64_e64 v[72:73], v[98:99], -v[94:95]
	v_add_f64_e64 v[106:107], v[84:85], -v[96:97]
	;; [unrolled: 1-line block ×3, first 2 shown]
	v_fma_f64 v[28:29], v[104:105], s[12:13], v[30:31]
	v_fma_f64 v[30:31], v[104:105], s[14:15], v[38:39]
	;; [unrolled: 1-line block ×3, first 2 shown]
	v_add_f64_e32 v[76:77], v[90:91], v[94:95]
	v_fma_f64 v[34:35], v[100:101], s[2:3], v[34:35]
	v_add_f64_e64 v[108:109], v[88:89], -v[92:93]
	v_fma_f64 v[32:33], v[36:37], s[2:3], v[28:29]
	v_fma_f64 v[28:29], v[36:37], s[2:3], v[30:31]
	;; [unrolled: 1-line block ×3, first 2 shown]
	v_add_f64_e64 v[36:37], v[84:85], -v[88:89]
	v_add_f64_e64 v[38:39], v[96:97], -v[92:93]
	v_fma_f64 v[76:77], v[76:77], -0.5, v[193:194]
	v_add_f64_e64 v[100:101], v[86:87], -v[98:99]
	s_delay_alu instid0(VALU_DEP_3) | instskip(SKIP_1) | instid1(VALU_DEP_4)
	v_add_f64_e32 v[36:37], v[36:37], v[38:39]
	v_add_f64_e64 v[38:39], v[86:87], -v[90:91]
	v_fma_f64 v[110:111], v[106:107], s[18:19], v[76:77]
	v_fma_f64 v[76:77], v[106:107], s[16:17], v[76:77]
	s_delay_alu instid0(VALU_DEP_3) | instskip(SKIP_1) | instid1(VALU_DEP_4)
	v_add_f64_e32 v[38:39], v[38:39], v[72:73]
	v_add_f64_e32 v[72:73], v[88:89], v[92:93]
	v_fma_f64 v[110:111], v[108:109], s[14:15], v[110:111]
	s_delay_alu instid0(VALU_DEP_4) | instskip(NEXT) | instid1(VALU_DEP_3)
	v_fma_f64 v[76:77], v[108:109], s[12:13], v[76:77]
	v_fma_f64 v[72:73], v[72:73], -0.5, v[191:192]
	s_delay_alu instid0(VALU_DEP_3) | instskip(SKIP_1) | instid1(VALU_DEP_4)
	v_fma_f64 v[197:198], v[38:39], s[2:3], v[110:111]
	v_add_f64_e32 v[110:111], v[193:194], v[86:87]
	v_fma_f64 v[38:39], v[38:39], s[2:3], v[76:77]
	v_add_f64_e32 v[76:77], v[86:87], v[98:99]
	v_add_f64_e64 v[86:87], v[90:91], -v[86:87]
	v_fma_f64 v[104:105], v[100:101], s[16:17], v[72:73]
	v_fma_f64 v[72:73], v[100:101], s[18:19], v[72:73]
	s_delay_alu instid0(VALU_DEP_4) | instskip(NEXT) | instid1(VALU_DEP_3)
	v_fma_f64 v[76:77], v[76:77], -0.5, v[193:194]
	v_fma_f64 v[104:105], v[102:103], s[12:13], v[104:105]
	s_delay_alu instid0(VALU_DEP_3) | instskip(NEXT) | instid1(VALU_DEP_2)
	v_fma_f64 v[72:73], v[102:103], s[14:15], v[72:73]
	v_fma_f64 v[195:196], v[36:37], s[2:3], v[104:105]
	v_add_f64_e32 v[104:105], v[191:192], v[84:85]
	s_delay_alu instid0(VALU_DEP_3) | instskip(SKIP_2) | instid1(VALU_DEP_4)
	v_fma_f64 v[36:37], v[36:37], s[2:3], v[72:73]
	v_add_f64_e32 v[72:73], v[84:85], v[96:97]
	v_add_f64_e64 v[84:85], v[88:89], -v[84:85]
	v_add_f64_e32 v[88:89], v[104:105], v[88:89]
	v_add_f64_e32 v[104:105], v[110:111], v[90:91]
	s_delay_alu instid0(VALU_DEP_4) | instskip(NEXT) | instid1(VALU_DEP_3)
	v_fma_f64 v[72:73], v[72:73], -0.5, v[191:192]
	v_add_f64_e32 v[88:89], v[88:89], v[92:93]
	s_delay_alu instid0(VALU_DEP_3) | instskip(SKIP_1) | instid1(VALU_DEP_3)
	v_add_f64_e32 v[90:91], v[104:105], v[94:95]
	v_add_f64_e64 v[92:93], v[92:93], -v[96:97]
	v_add_f64_e32 v[191:192], v[88:89], v[96:97]
	s_delay_alu instid0(VALU_DEP_3)
	v_add_f64_e32 v[193:194], v[90:91], v[98:99]
	v_add_f64_e64 v[88:89], v[94:95], -v[98:99]
	v_fma_f64 v[90:91], v[102:103], s[18:19], v[72:73]
	v_fma_f64 v[72:73], v[102:103], s[16:17], v[72:73]
	;; [unrolled: 1-line block ×4, first 2 shown]
	v_add_f64_e32 v[84:85], v[84:85], v[92:93]
	v_add_f64_e64 v[96:97], v[184:185], -v[182:183]
	v_add_f64_e32 v[86:87], v[86:87], v[88:89]
	v_fma_f64 v[88:89], v[100:101], s[12:13], v[90:91]
	v_fma_f64 v[72:73], v[100:101], s[14:15], v[72:73]
	;; [unrolled: 1-line block ×4, first 2 shown]
	v_add_f64_e64 v[94:95], v[176:177], -v[186:187]
	v_add_f64_e64 v[100:101], v[182:183], -v[186:187]
	v_fma_f64 v[208:209], v[84:85], s[2:3], v[88:89]
	v_fma_f64 v[213:214], v[84:85], s[2:3], v[72:73]
	v_add_f64_e64 v[72:73], v[176:177], -v[184:185]
	v_fma_f64 v[215:216], v[86:87], s[2:3], v[76:77]
	v_add_f64_e64 v[76:77], v[186:187], -v[182:183]
	v_add_f64_e64 v[84:85], v[188:189], -v[180:181]
	v_fma_f64 v[210:211], v[86:87], s[2:3], v[90:91]
	v_add_f64_e32 v[86:87], v[178:179], v[180:181]
	v_add_f64_e64 v[88:89], v[174:175], -v[188:189]
	v_add_f64_e64 v[90:91], v[178:179], -v[180:181]
	v_add_f64_e32 v[72:73], v[72:73], v[76:77]
	v_add_f64_e64 v[76:77], v[174:175], -v[178:179]
	v_fma_f64 v[86:87], v[86:87], -0.5, v[219:220]
	s_delay_alu instid0(VALU_DEP_2) | instskip(SKIP_1) | instid1(VALU_DEP_3)
	v_add_f64_e32 v[76:77], v[76:77], v[84:85]
	v_add_f64_e32 v[84:85], v[184:185], v[182:183]
	v_fma_f64 v[98:99], v[94:95], s[18:19], v[86:87]
	v_fma_f64 v[86:87], v[94:95], s[16:17], v[86:87]
	s_delay_alu instid0(VALU_DEP_3) | instskip(NEXT) | instid1(VALU_DEP_3)
	v_fma_f64 v[84:85], v[84:85], -0.5, v[217:218]
	v_fma_f64 v[98:99], v[96:97], s[14:15], v[98:99]
	s_delay_alu instid0(VALU_DEP_3) | instskip(NEXT) | instid1(VALU_DEP_3)
	v_fma_f64 v[86:87], v[96:97], s[12:13], v[86:87]
	v_fma_f64 v[92:93], v[88:89], s[16:17], v[84:85]
	;; [unrolled: 1-line block ×3, first 2 shown]
	s_delay_alu instid0(VALU_DEP_3)
	v_fma_f64 v[227:228], v[76:77], s[2:3], v[86:87]
	v_add_f64_e32 v[86:87], v[219:220], v[174:175]
	v_fma_f64 v[223:224], v[76:77], s[2:3], v[98:99]
	v_add_f64_e32 v[76:77], v[174:175], v[188:189]
	v_add_f64_e64 v[98:99], v[178:179], -v[174:175]
	v_fma_f64 v[92:93], v[90:91], s[12:13], v[92:93]
	v_fma_f64 v[84:85], v[90:91], s[14:15], v[84:85]
	v_add_f64_e32 v[86:87], v[86:87], v[178:179]
	v_fma_f64 v[76:77], v[76:77], -0.5, v[219:220]
	s_delay_alu instid0(VALU_DEP_4) | instskip(NEXT) | instid1(VALU_DEP_4)
	v_fma_f64 v[221:222], v[72:73], s[2:3], v[92:93]
	v_fma_f64 v[225:226], v[72:73], s[2:3], v[84:85]
	v_add_f64_e32 v[84:85], v[217:218], v[176:177]
	v_add_f64_e32 v[72:73], v[176:177], v[186:187]
	;; [unrolled: 1-line block ×3, first 2 shown]
	v_add_f64_e64 v[92:93], v[184:185], -v[176:177]
	s_delay_alu instid0(VALU_DEP_4) | instskip(NEXT) | instid1(VALU_DEP_4)
	v_add_f64_e32 v[84:85], v[84:85], v[184:185]
	v_fma_f64 v[72:73], v[72:73], -0.5, v[217:218]
	s_delay_alu instid0(VALU_DEP_4) | instskip(NEXT) | instid1(VALU_DEP_4)
	v_add_f64_e32 v[176:177], v[86:87], v[188:189]
	v_add_f64_e32 v[92:93], v[92:93], v[100:101]
	s_delay_alu instid0(VALU_DEP_4) | instskip(NEXT) | instid1(VALU_DEP_4)
	v_add_f64_e32 v[84:85], v[84:85], v[182:183]
	v_fma_f64 v[86:87], v[90:91], s[18:19], v[72:73]
	v_fma_f64 v[72:73], v[90:91], s[16:17], v[72:73]
	;; [unrolled: 1-line block ×4, first 2 shown]
	v_add_f64_e64 v[96:97], v[69:70], -v[152:153]
	v_add_f64_e32 v[174:175], v[84:85], v[186:187]
	v_add_f64_e64 v[84:85], v[180:181], -v[188:189]
	v_fma_f64 v[72:73], v[88:89], s[14:15], v[72:73]
	v_fma_f64 v[86:87], v[88:89], s[12:13], v[86:87]
	v_fma_f64 v[76:77], v[94:95], s[12:13], v[76:77]
	v_fma_f64 v[88:89], v[94:95], s[14:15], v[90:91]
	ds_load_b128 v[186:189], v68 offset:320
	v_add_f64_e64 v[94:95], v[62:63], -v[154:155]
	v_add_f64_e64 v[90:91], v[64:65], -v[66:67]
	v_add_f64_e32 v[84:85], v[98:99], v[84:85]
	v_fma_f64 v[182:183], v[92:93], s[2:3], v[72:73]
	v_add_f64_e64 v[72:73], v[62:63], -v[69:70]
	v_fma_f64 v[178:179], v[92:93], s[2:3], v[86:87]
	v_add_f64_e32 v[86:87], v[64:65], v[66:67]
	v_fma_f64 v[184:185], v[84:85], s[2:3], v[76:77]
	v_add_f64_e64 v[76:77], v[154:155], -v[152:153]
	v_fma_f64 v[180:181], v[84:85], s[2:3], v[88:89]
	v_add_f64_e64 v[84:85], v[172:173], -v[66:67]
	s_wait_dscnt 0x0
	v_fma_f64 v[86:87], v[86:87], -0.5, v[188:189]
	v_add_f64_e64 v[88:89], v[60:61], -v[172:173]
	v_add_f64_e32 v[72:73], v[72:73], v[76:77]
	v_add_f64_e64 v[76:77], v[60:61], -v[64:65]
	s_delay_alu instid0(VALU_DEP_4) | instskip(SKIP_1) | instid1(VALU_DEP_3)
	v_fma_f64 v[98:99], v[94:95], s[18:19], v[86:87]
	v_fma_f64 v[86:87], v[94:95], s[16:17], v[86:87]
	v_add_f64_e32 v[76:77], v[76:77], v[84:85]
	v_add_f64_e32 v[84:85], v[69:70], v[152:153]
	s_delay_alu instid0(VALU_DEP_4) | instskip(NEXT) | instid1(VALU_DEP_4)
	v_fma_f64 v[98:99], v[96:97], s[14:15], v[98:99]
	v_fma_f64 v[86:87], v[96:97], s[12:13], v[86:87]
	s_delay_alu instid0(VALU_DEP_3) | instskip(NEXT) | instid1(VALU_DEP_3)
	v_fma_f64 v[84:85], v[84:85], -0.5, v[186:187]
	v_fma_f64 v[219:220], v[76:77], s[2:3], v[98:99]
	s_delay_alu instid0(VALU_DEP_3) | instskip(SKIP_4) | instid1(VALU_DEP_3)
	v_fma_f64 v[246:247], v[76:77], s[2:3], v[86:87]
	v_add_f64_e32 v[86:87], v[188:189], v[60:61]
	v_add_f64_e32 v[76:77], v[60:61], v[172:173]
	v_fma_f64 v[92:93], v[88:89], s[16:17], v[84:85]
	v_fma_f64 v[84:85], v[88:89], s[18:19], v[84:85]
	v_fma_f64 v[76:77], v[76:77], -0.5, v[188:189]
	s_delay_alu instid0(VALU_DEP_3) | instskip(NEXT) | instid1(VALU_DEP_3)
	v_fma_f64 v[92:93], v[90:91], s[12:13], v[92:93]
	v_fma_f64 v[84:85], v[90:91], s[14:15], v[84:85]
	s_delay_alu instid0(VALU_DEP_2) | instskip(NEXT) | instid1(VALU_DEP_2)
	v_fma_f64 v[217:218], v[72:73], s[2:3], v[92:93]
	v_fma_f64 v[244:245], v[72:73], s[2:3], v[84:85]
	v_add_f64_e32 v[72:73], v[62:63], v[154:155]
	v_add_f64_e32 v[84:85], v[186:187], v[62:63]
	v_add_f64_e64 v[92:93], v[69:70], -v[62:63]
	s_delay_alu instid0(VALU_DEP_3) | instskip(NEXT) | instid1(VALU_DEP_3)
	v_fma_f64 v[72:73], v[72:73], -0.5, v[186:187]
	v_add_f64_e32 v[62:63], v[84:85], v[69:70]
	v_add_f64_e32 v[69:70], v[86:87], v[64:65]
	v_add_f64_e64 v[64:65], v[64:65], -v[60:61]
	v_fma_f64 v[86:87], v[96:97], s[16:17], v[76:77]
	v_fma_f64 v[76:77], v[96:97], s[18:19], v[76:77]
	ds_load_b128 v[186:189], v68 offset:400
	global_wb scope:SCOPE_SE
	s_wait_storecnt_dscnt 0x0
	s_barrier_signal -1
	s_barrier_wait -1
	global_inv scope:SCOPE_SE
	ds_store_b128 v68, v[16:19]
	ds_store_b128 v68, v[40:43] offset:80
	ds_store_b128 v68, v[191:194] offset:800
	ds_store_b128 v68, v[174:177] offset:880
	ds_store_b128 v68, v[0:3] offset:160
	ds_store_b128 v68, v[20:23] offset:240
	ds_store_b128 v68, v[12:15] offset:320
	ds_store_b128 v68, v[32:35] offset:400
	ds_store_b128 v68, v[8:11] offset:480
	ds_store_b128 v68, v[28:31] offset:560
	ds_store_b128 v68, v[4:7] offset:640
	ds_store_b128 v68, v[24:27] offset:720
	ds_store_b128 v68, v[195:198] offset:960
	ds_store_b128 v68, v[221:224] offset:1040
	ds_store_b128 v68, v[208:211] offset:1120
	ds_store_b128 v68, v[178:181] offset:1200
	ds_store_b128 v68, v[213:216] offset:1280
	ds_store_b128 v68, v[182:185] offset:1360
	ds_store_b128 v68, v[36:39] offset:1440
	ds_store_b128 v68, v[225:228] offset:1520
	v_and_b32_e32 v0, 0xff, v75
	v_lshlrev_b32_e32 v15, 5, v79
	s_delay_alu instid0(VALU_DEP_2) | instskip(SKIP_1) | instid1(VALU_DEP_1)
	v_lshl_add_u32 v196, v0, 4, v80
	v_and_b32_e32 v0, 0xff, v190
	v_lshl_add_u32 v198, v0, 4, v80
	v_lshlrev_b32_e32 v0, 5, v74
	v_fma_f64 v[84:85], v[90:91], s[18:19], v[72:73]
	v_add_f64_e32 v[60:61], v[62:63], v[152:153]
	v_add_f64_e32 v[62:63], v[69:70], v[66:67]
	v_add_f64_e64 v[69:70], v[152:153], -v[154:155]
	v_add_f64_e64 v[66:67], v[66:67], -v[172:173]
	v_fma_f64 v[72:73], v[90:91], s[16:17], v[72:73]
	v_fma_f64 v[76:77], v[94:95], s[12:13], v[76:77]
	v_add_f64_e32 v[60:61], v[60:61], v[154:155]
	v_add_f64_e32 v[62:63], v[62:63], v[172:173]
	;; [unrolled: 1-line block ×4, first 2 shown]
	v_fma_f64 v[64:65], v[88:89], s[12:13], v[84:85]
	v_fma_f64 v[72:73], v[88:89], s[14:15], v[72:73]
	v_add_f64_e32 v[84:85], v[48:49], v[50:51]
	v_fma_f64 v[66:67], v[94:95], s[14:15], v[86:87]
	v_add_f64_e64 v[86:87], v[44:45], -v[58:59]
	v_add_f64_e64 v[92:93], v[46:47], -v[56:57]
	;; [unrolled: 1-line block ×4, first 2 shown]
	v_fma_f64 v[154:155], v[90:91], s[2:3], v[76:77]
	v_fma_f64 v[64:65], v[69:70], s[2:3], v[64:65]
	v_fma_f64 v[152:153], v[69:70], s[2:3], v[72:73]
	v_add_f64_e64 v[69:70], v[46:47], -v[54:55]
	v_add_f64_e64 v[72:73], v[56:57], -v[52:53]
	;; [unrolled: 1-line block ×3, first 2 shown]
	v_fma_f64 v[84:85], v[84:85], -0.5, v[188:189]
	v_fma_f64 v[66:67], v[90:91], s[2:3], v[66:67]
	ds_store_b128 v196, v[60:63] offset:1600
	ds_store_b128 v196, v[217:220] offset:1760
	;; [unrolled: 1-line block ×5, first 2 shown]
	v_add_f64_e32 v[69:70], v[69:70], v[72:73]
	v_add_f64_e64 v[72:73], v[44:45], -v[48:49]
	v_fma_f64 v[96:97], v[92:93], s[18:19], v[84:85]
	v_fma_f64 v[84:85], v[92:93], s[16:17], v[84:85]
	s_delay_alu instid0(VALU_DEP_3) | instskip(SKIP_1) | instid1(VALU_DEP_3)
	v_add_f64_e32 v[72:73], v[72:73], v[76:77]
	v_add_f64_e32 v[76:77], v[54:55], v[52:53]
	v_fma_f64 v[84:85], v[94:95], s[12:13], v[84:85]
	v_fma_f64 v[96:97], v[94:95], s[14:15], v[96:97]
	s_delay_alu instid0(VALU_DEP_3) | instskip(NEXT) | instid1(VALU_DEP_3)
	v_fma_f64 v[76:77], v[76:77], -0.5, v[186:187]
	v_fma_f64 v[254:255], v[72:73], s[2:3], v[84:85]
	v_add_f64_e32 v[84:85], v[188:189], v[44:45]
	s_delay_alu instid0(VALU_DEP_4) | instskip(SKIP_3) | instid1(VALU_DEP_3)
	v_fma_f64 v[250:251], v[72:73], s[2:3], v[96:97]
	v_add_f64_e32 v[72:73], v[44:45], v[58:59]
	v_fma_f64 v[90:91], v[86:87], s[16:17], v[76:77]
	v_fma_f64 v[76:77], v[86:87], s[18:19], v[76:77]
	v_fma_f64 v[72:73], v[72:73], -0.5, v[188:189]
	s_delay_alu instid0(VALU_DEP_3) | instskip(NEXT) | instid1(VALU_DEP_3)
	v_fma_f64 v[90:91], v[88:89], s[12:13], v[90:91]
	v_fma_f64 v[76:77], v[88:89], s[14:15], v[76:77]
	s_delay_alu instid0(VALU_DEP_2) | instskip(NEXT) | instid1(VALU_DEP_2)
	v_fma_f64 v[248:249], v[69:70], s[2:3], v[90:91]
	v_fma_f64 v[252:253], v[69:70], s[2:3], v[76:77]
	v_add_f64_e32 v[76:77], v[186:187], v[46:47]
	v_add_f64_e32 v[69:70], v[46:47], v[56:57]
	v_add_f64_e64 v[90:91], v[54:55], -v[46:47]
	s_delay_alu instid0(VALU_DEP_3) | instskip(SKIP_1) | instid1(VALU_DEP_4)
	v_add_f64_e32 v[46:47], v[76:77], v[54:55]
	v_add_f64_e32 v[54:55], v[84:85], v[48:49]
	v_fma_f64 v[69:70], v[69:70], -0.5, v[186:187]
	v_add_f64_e64 v[48:49], v[48:49], -v[44:45]
	s_delay_alu instid0(VALU_DEP_4) | instskip(NEXT) | instid1(VALU_DEP_4)
	v_add_f64_e32 v[44:45], v[46:47], v[52:53]
	v_add_f64_e32 v[46:47], v[54:55], v[50:51]
	v_add_f64_e64 v[52:53], v[52:53], -v[56:57]
	v_add_f64_e64 v[50:51], v[50:51], -v[58:59]
	v_fma_f64 v[54:55], v[88:89], s[18:19], v[69:70]
	v_add_f64_e32 v[44:45], v[44:45], v[56:57]
	v_add_f64_e32 v[46:47], v[46:47], v[58:59]
	v_fma_f64 v[58:59], v[94:95], s[16:17], v[72:73]
	v_fma_f64 v[56:57], v[88:89], s[16:17], v[69:70]
	;; [unrolled: 1-line block ×3, first 2 shown]
	v_add_f64_e32 v[52:53], v[90:91], v[52:53]
	v_add_f64_e32 v[72:73], v[48:49], v[50:51]
	v_fma_f64 v[48:49], v[86:87], s[12:13], v[54:55]
	v_fma_f64 v[50:51], v[92:93], s[14:15], v[58:59]
	;; [unrolled: 1-line block ×4, first 2 shown]
	s_delay_alu instid0(VALU_DEP_4) | instskip(NEXT) | instid1(VALU_DEP_4)
	v_fma_f64 v[48:49], v[52:53], s[2:3], v[48:49]
	v_fma_f64 v[50:51], v[72:73], s[2:3], v[50:51]
	s_delay_alu instid0(VALU_DEP_4) | instskip(NEXT) | instid1(VALU_DEP_4)
	v_fma_f64 v[52:53], v[52:53], s[2:3], v[54:55]
	v_fma_f64 v[54:55], v[72:73], s[2:3], v[56:57]
	ds_store_b128 v198, v[44:47] offset:1600
	ds_store_b128 v198, v[248:251] offset:1760
	;; [unrolled: 1-line block ×5, first 2 shown]
	global_wb scope:SCOPE_SE
	s_wait_dscnt 0x0
	s_barrier_signal -1
	s_barrier_wait -1
	global_inv scope:SCOPE_SE
	s_clause 0x2
	global_load_b128 v[7:10], v0, s[10:11] offset:640
	global_load_b128 v[184:187], v0, s[10:11] offset:656
	;; [unrolled: 1-line block ×3, first 2 shown]
	ds_load_b128 v[1:4], v68 offset:800
	scratch_load_b32 v197, off, off offset:628 th:TH_LOAD_LU ; 4-byte Folded Reload
	ds_load_b128 v[48:51], v68 offset:320
	ds_load_b128 v[88:91], v68 offset:480
	;; [unrolled: 1-line block ×4, first 2 shown]
	s_wait_loadcnt_dscnt 0x304
	v_mul_f64_e32 v[5:6], v[3:4], v[9:10]
	scratch_store_b128 off, v[7:10], off offset:612 ; 16-byte Folded Spill
	s_wait_loadcnt 0x1
	scratch_store_b128 off, v[18:21], off offset:580 ; 16-byte Folded Spill
	v_fma_f64 v[5:6], v[1:2], v[7:8], -v[5:6]
	v_mul_f64_e32 v[1:2], v[1:2], v[9:10]
	s_delay_alu instid0(VALU_DEP_1) | instskip(SKIP_3) | instid1(VALU_DEP_1)
	v_fma_f64 v[7:8], v[3:4], v[7:8], v[1:2]
	ds_load_b128 v[1:4], v68 offset:1600
	s_wait_dscnt 0x0
	v_mul_f64_e32 v[9:10], v[3:4], v[186:187]
	v_fma_f64 v[9:10], v[1:2], v[184:185], -v[9:10]
	v_mul_f64_e32 v[1:2], v[1:2], v[186:187]
	s_delay_alu instid0(VALU_DEP_1) | instskip(SKIP_3) | instid1(VALU_DEP_1)
	v_fma_f64 v[11:12], v[3:4], v[184:185], v[1:2]
	ds_load_b128 v[1:4], v68 offset:880
	s_wait_dscnt 0x0
	v_mul_f64_e32 v[13:14], v[3:4], v[20:21]
	v_fma_f64 v[16:17], v[1:2], v[18:19], -v[13:14]
	v_mul_f64_e32 v[1:2], v[1:2], v[20:21]
	global_load_b128 v[20:23], v15, s[10:11] offset:656
	v_lshlrev_b32_e32 v15, 5, v78
	s_clause 0x1
	global_load_b128 v[26:29], v15, s[10:11] offset:640
	global_load_b128 v[188:191], v15, s[10:11] offset:656
	v_add_nc_u32_e32 v15, 0x1e0, v0
	s_clause 0x1
	global_load_b128 v[192:195], v15, s[10:11] offset:640
	global_load_b128 v[180:183], v15, s[10:11] offset:656
	v_lshlrev_b32_e32 v15, 5, v71
	s_clause 0x1
	global_load_b128 v[176:179], v15, s[10:11] offset:640
	global_load_b128 v[208:211], v15, s[10:11] offset:656
	v_lshlrev_b32_e32 v15, 5, v212
	s_clause 0x1
	global_load_b128 v[216:219], v15, s[10:11] offset:640
	global_load_b128 v[224:227], v15, s[10:11] offset:656
	v_add_nc_u32_e32 v15, 0x3c0, v0
	s_clause 0x1
	global_load_b128 v[228:231], v15, s[10:11] offset:640
	global_load_b128 v[244:247], v15, s[10:11] offset:656
	v_add_nc_u32_e32 v15, 0x460, v0
	v_fma_f64 v[18:19], v[3:4], v[18:19], v[1:2]
	ds_load_b128 v[1:4], v68 offset:1680
	s_clause 0x1
	global_load_b128 v[248:251], v15, s[10:11] offset:640
	global_load_b128 v[172:175], v15, s[10:11] offset:656
	s_wait_loadcnt 0xd
	v_lshlrev_b32_e32 v15, 5, v197
	s_clause 0x1
	global_load_b128 v[152:155], v15, s[10:11] offset:640
	global_load_b128 v[252:255], v15, s[10:11] offset:656
	s_wait_loadcnt_dscnt 0xe00
	v_mul_f64_e32 v[13:14], v[3:4], v[22:23]
	scratch_store_b128 off, v[20:23], off offset:564 ; 16-byte Folded Spill
	s_wait_loadcnt 0xd
	scratch_store_b128 off, v[26:29], off offset:596 ; 16-byte Folded Spill
	v_fma_f64 v[24:25], v[1:2], v[20:21], -v[13:14]
	v_mul_f64_e32 v[1:2], v[1:2], v[22:23]
	v_add_f64_e32 v[22:23], v[7:8], v[11:12]
	s_delay_alu instid0(VALU_DEP_2) | instskip(SKIP_3) | instid1(VALU_DEP_1)
	v_fma_f64 v[20:21], v[3:4], v[20:21], v[1:2]
	ds_load_b128 v[1:4], v68 offset:960
	s_wait_dscnt 0x0
	v_mul_f64_e32 v[13:14], v[3:4], v[28:29]
	v_fma_f64 v[32:33], v[1:2], v[26:27], -v[13:14]
	v_mul_f64_e32 v[1:2], v[1:2], v[28:29]
	s_delay_alu instid0(VALU_DEP_1) | instskip(SKIP_3) | instid1(VALU_DEP_1)
	v_fma_f64 v[34:35], v[3:4], v[26:27], v[1:2]
	ds_load_b128 v[1:4], v68 offset:1760
	s_wait_loadcnt_dscnt 0xc00
	v_mul_f64_e32 v[13:14], v[3:4], v[190:191]
	v_fma_f64 v[36:37], v[1:2], v[188:189], -v[13:14]
	v_mul_f64_e32 v[1:2], v[1:2], v[190:191]
	s_delay_alu instid0(VALU_DEP_1) | instskip(SKIP_3) | instid1(VALU_DEP_1)
	v_fma_f64 v[38:39], v[3:4], v[188:189], v[1:2]
	ds_load_b128 v[1:4], v68 offset:1040
	s_wait_loadcnt_dscnt 0xb00
	;; [unrolled: 7-line block ×13, first 2 shown]
	v_mul_f64_e32 v[13:14], v[3:4], v[254:255]
	v_fma_f64 v[128:129], v[1:2], v[252:253], -v[13:14]
	v_mul_f64_e32 v[1:2], v[1:2], v[254:255]
	s_delay_alu instid0(VALU_DEP_1)
	v_fma_f64 v[130:131], v[3:4], v[252:253], v[1:2]
	v_add_nc_u32_e32 v4, 0x5a0, v0
	ds_load_b128 v[0:3], v68 offset:1520
	s_clause 0x1
	global_load_b128 v[220:223], v4, s[10:11] offset:640
	global_load_b128 v[212:215], v4, s[10:11] offset:656
	s_mov_b32 s11, 0xbfebb67a
	s_mov_b32 s10, s20
	s_wait_loadcnt_dscnt 0x100
	v_mul_f64_e32 v[13:14], v[2:3], v[222:223]
	s_delay_alu instid0(VALU_DEP_1) | instskip(SKIP_1) | instid1(VALU_DEP_1)
	v_fma_f64 v[132:133], v[0:1], v[220:221], -v[13:14]
	v_mul_f64_e32 v[0:1], v[0:1], v[222:223]
	v_fma_f64 v[134:135], v[2:3], v[220:221], v[0:1]
	ds_load_b128 v[0:3], v68 offset:2320
	s_wait_loadcnt_dscnt 0x0
	v_mul_f64_e32 v[13:14], v[2:3], v[214:215]
	s_delay_alu instid0(VALU_DEP_1) | instskip(SKIP_2) | instid1(VALU_DEP_2)
	v_fma_f64 v[136:137], v[0:1], v[212:213], -v[13:14]
	v_mul_f64_e32 v[0:1], v[0:1], v[214:215]
	v_add_f64_e32 v[13:14], v[5:6], v[9:10]
	v_fma_f64 v[138:139], v[2:3], v[212:213], v[0:1]
	ds_load_b128 v[0:3], v68
	s_wait_dscnt 0x0
	v_fma_f64 v[13:14], v[13:14], -0.5, v[0:1]
	v_fma_f64 v[22:23], v[22:23], -0.5, v[2:3]
	v_add_f64_e32 v[2:3], v[2:3], v[7:8]
	v_add_f64_e32 v[0:1], v[0:1], v[5:6]
	v_add_f64_e64 v[7:8], v[7:8], -v[11:12]
	s_delay_alu instid0(VALU_DEP_3) | instskip(NEXT) | instid1(VALU_DEP_3)
	v_add_f64_e32 v[30:31], v[2:3], v[11:12]
	v_add_f64_e32 v[28:29], v[0:1], v[9:10]
	v_add_f64_e64 v[0:1], v[5:6], -v[9:10]
	s_delay_alu instid0(VALU_DEP_4)
	v_fma_f64 v[120:121], v[7:8], s[20:21], v[13:14]
	v_fma_f64 v[124:125], v[7:8], s[10:11], v[13:14]
	ds_load_b128 v[12:15], v68 offset:80
	v_add_f64_e32 v[2:3], v[18:19], v[20:21]
	v_add_f64_e64 v[8:9], v[18:19], -v[20:21]
	s_wait_dscnt 0x0
	v_add_f64_e32 v[4:5], v[14:15], v[18:19]
	v_add_f64_e32 v[6:7], v[12:13], v[16:17]
	v_fma_f64 v[122:123], v[0:1], s[10:11], v[22:23]
	v_fma_f64 v[126:127], v[0:1], s[20:21], v[22:23]
	v_add_f64_e32 v[0:1], v[16:17], v[24:25]
	v_fma_f64 v[2:3], v[2:3], -0.5, v[14:15]
	v_add_f64_e32 v[22:23], v[4:5], v[20:21]
	v_add_f64_e64 v[4:5], v[16:17], -v[24:25]
	v_add_f64_e32 v[20:21], v[6:7], v[24:25]
	ds_load_b128 v[24:27], v68 offset:160
	v_fma_f64 v[0:1], v[0:1], -0.5, v[12:13]
	s_wait_dscnt 0x0
	v_add_f64_e32 v[6:7], v[24:25], v[32:33]
	v_fma_f64 v[66:67], v[4:5], s[10:11], v[2:3]
	v_fma_f64 v[79:80], v[4:5], s[20:21], v[2:3]
	v_add_f64_e32 v[2:3], v[34:35], v[38:39]
	v_add_f64_e32 v[4:5], v[26:27], v[34:35]
	v_fma_f64 v[64:65], v[8:9], s[20:21], v[0:1]
	v_fma_f64 v[77:78], v[8:9], s[10:11], v[0:1]
	v_add_f64_e32 v[0:1], v[32:33], v[36:37]
	v_add_f64_e64 v[8:9], v[34:35], -v[38:39]
	v_fma_f64 v[2:3], v[2:3], -0.5, v[26:27]
	v_add_f64_e32 v[26:27], v[4:5], v[38:39]
	v_add_f64_e64 v[4:5], v[32:33], -v[36:37]
	v_fma_f64 v[0:1], v[0:1], -0.5, v[24:25]
	v_add_f64_e32 v[24:25], v[6:7], v[36:37]
	ds_load_b128 v[36:39], v68 offset:240
	s_wait_dscnt 0x0
	v_add_f64_e32 v[6:7], v[36:37], v[40:41]
	v_fma_f64 v[34:35], v[4:5], s[10:11], v[2:3]
	v_fma_f64 v[62:63], v[4:5], s[20:21], v[2:3]
	v_add_f64_e32 v[2:3], v[42:43], v[46:47]
	v_add_f64_e32 v[4:5], v[38:39], v[42:43]
	v_fma_f64 v[32:33], v[8:9], s[20:21], v[0:1]
	v_fma_f64 v[60:61], v[8:9], s[10:11], v[0:1]
	v_add_f64_e32 v[0:1], v[40:41], v[44:45]
	v_add_f64_e64 v[8:9], v[42:43], -v[46:47]
	v_fma_f64 v[2:3], v[2:3], -0.5, v[38:39]
	v_add_f64_e32 v[38:39], v[4:5], v[46:47]
	v_add_f64_e64 v[4:5], v[40:41], -v[44:45]
	v_fma_f64 v[0:1], v[0:1], -0.5, v[36:37]
	v_add_f64_e32 v[36:37], v[6:7], v[44:45]
	v_add_f64_e32 v[6:7], v[48:49], v[52:53]
	s_delay_alu instid0(VALU_DEP_4)
	v_fma_f64 v[42:43], v[4:5], s[10:11], v[2:3]
	v_fma_f64 v[46:47], v[4:5], s[20:21], v[2:3]
	v_add_f64_e32 v[2:3], v[54:55], v[58:59]
	v_add_f64_e32 v[4:5], v[50:51], v[54:55]
	v_fma_f64 v[40:41], v[8:9], s[20:21], v[0:1]
	v_fma_f64 v[44:45], v[8:9], s[10:11], v[0:1]
	v_add_f64_e32 v[0:1], v[52:53], v[56:57]
	v_add_f64_e64 v[8:9], v[54:55], -v[58:59]
	v_fma_f64 v[2:3], v[2:3], -0.5, v[50:51]
	v_add_f64_e32 v[50:51], v[4:5], v[58:59]
	v_add_f64_e64 v[4:5], v[52:53], -v[56:57]
	v_fma_f64 v[0:1], v[0:1], -0.5, v[48:49]
	v_add_f64_e32 v[48:49], v[6:7], v[56:57]
	v_add_f64_e32 v[6:7], v[71:72], v[75:76]
	s_delay_alu instid0(VALU_DEP_4)
	v_fma_f64 v[54:55], v[4:5], s[10:11], v[2:3]
	v_fma_f64 v[58:59], v[4:5], s[20:21], v[2:3]
	v_add_f64_e32 v[4:5], v[69:70], v[73:74]
	v_fma_f64 v[52:53], v[8:9], s[20:21], v[0:1]
	v_fma_f64 v[56:57], v[8:9], s[10:11], v[0:1]
	ds_load_b128 v[0:3], v68 offset:400
	v_add_f64_e64 v[8:9], v[71:72], -v[75:76]
	s_wait_dscnt 0x0
	v_fma_f64 v[6:7], v[6:7], -0.5, v[2:3]
	v_add_f64_e32 v[2:3], v[2:3], v[71:72]
	v_add_f64_e64 v[71:72], v[132:133], -v[136:137]
	v_fma_f64 v[4:5], v[4:5], -0.5, v[0:1]
	v_add_f64_e32 v[0:1], v[0:1], v[69:70]
	s_delay_alu instid0(VALU_DEP_4) | instskip(SKIP_1) | instid1(VALU_DEP_4)
	v_add_f64_e32 v[18:19], v[2:3], v[75:76]
	v_add_f64_e32 v[2:3], v[94:95], v[98:99]
	v_fma_f64 v[84:85], v[8:9], s[10:11], v[4:5]
	s_delay_alu instid0(VALU_DEP_4)
	v_add_f64_e32 v[16:17], v[0:1], v[73:74]
	v_add_f64_e64 v[0:1], v[69:70], -v[73:74]
	v_fma_f64 v[73:74], v[8:9], s[20:21], v[4:5]
	v_add_f64_e32 v[4:5], v[90:91], v[94:95]
	v_add_f64_e64 v[8:9], v[94:95], -v[98:99]
	v_add_f64_e64 v[69:70], v[134:135], -v[138:139]
	v_fma_f64 v[2:3], v[2:3], -0.5, v[90:91]
	v_fma_f64 v[75:76], v[0:1], s[10:11], v[6:7]
	v_fma_f64 v[86:87], v[0:1], s[20:21], v[6:7]
	v_add_f64_e32 v[0:1], v[92:93], v[96:97]
	v_add_f64_e32 v[90:91], v[4:5], v[98:99]
	v_add_f64_e64 v[4:5], v[92:93], -v[96:97]
	v_add_f64_e32 v[6:7], v[88:89], v[92:93]
	s_delay_alu instid0(VALU_DEP_4) | instskip(NEXT) | instid1(VALU_DEP_3)
	v_fma_f64 v[0:1], v[0:1], -0.5, v[88:89]
	v_fma_f64 v[94:95], v[4:5], s[10:11], v[2:3]
	v_fma_f64 v[98:99], v[4:5], s[20:21], v[2:3]
	v_add_f64_e32 v[2:3], v[106:107], v[110:111]
	v_add_f64_e32 v[4:5], v[102:103], v[106:107]
	;; [unrolled: 1-line block ×4, first 2 shown]
	v_fma_f64 v[92:93], v[8:9], s[20:21], v[0:1]
	v_fma_f64 v[96:97], v[8:9], s[10:11], v[0:1]
	v_add_f64_e32 v[0:1], v[104:105], v[108:109]
	v_add_f64_e64 v[8:9], v[106:107], -v[110:111]
	v_fma_f64 v[2:3], v[2:3], -0.5, v[102:103]
	v_add_f64_e32 v[102:103], v[4:5], v[110:111]
	v_add_f64_e64 v[4:5], v[104:105], -v[108:109]
	v_fma_f64 v[0:1], v[0:1], -0.5, v[100:101]
	v_add_f64_e32 v[100:101], v[6:7], v[108:109]
	v_add_f64_e32 v[6:7], v[112:113], v[116:117]
	s_delay_alu instid0(VALU_DEP_4)
	v_fma_f64 v[106:107], v[4:5], s[10:11], v[2:3]
	v_fma_f64 v[110:111], v[4:5], s[20:21], v[2:3]
	v_add_f64_e32 v[2:3], v[118:119], v[130:131]
	v_add_f64_e32 v[4:5], v[114:115], v[118:119]
	v_fma_f64 v[104:105], v[8:9], s[20:21], v[0:1]
	v_fma_f64 v[108:109], v[8:9], s[10:11], v[0:1]
	v_add_f64_e32 v[0:1], v[116:117], v[128:129]
	v_add_f64_e64 v[8:9], v[118:119], -v[130:131]
	v_fma_f64 v[2:3], v[2:3], -0.5, v[114:115]
	v_add_f64_e32 v[114:115], v[4:5], v[130:131]
	v_add_f64_e64 v[4:5], v[116:117], -v[128:129]
	v_fma_f64 v[0:1], v[0:1], -0.5, v[112:113]
	v_add_f64_e32 v[112:113], v[6:7], v[128:129]
	s_delay_alu instid0(VALU_DEP_3)
	v_fma_f64 v[118:119], v[4:5], s[10:11], v[2:3]
	v_fma_f64 v[14:15], v[4:5], s[20:21], v[2:3]
	v_add_f64_e32 v[4:5], v[132:133], v[136:137]
	v_fma_f64 v[116:117], v[8:9], s[20:21], v[0:1]
	v_fma_f64 v[12:13], v[8:9], s[10:11], v[0:1]
	ds_load_b128 v[0:3], v68 offset:720
	s_wait_dscnt 0x0
	v_fma_f64 v[8:9], v[4:5], -0.5, v[0:1]
	v_add_f64_e32 v[4:5], v[134:135], v[138:139]
	v_add_f64_e32 v[0:1], v[0:1], v[132:133]
	s_delay_alu instid0(VALU_DEP_2) | instskip(SKIP_1) | instid1(VALU_DEP_3)
	v_fma_f64 v[10:11], v[4:5], -0.5, v[2:3]
	v_add_f64_e32 v[2:3], v[2:3], v[134:135]
	v_add_f64_e32 v[0:1], v[0:1], v[136:137]
	v_fma_f64 v[4:5], v[69:70], s[20:21], v[8:9]
	v_fma_f64 v[8:9], v[69:70], s[10:11], v[8:9]
	;; [unrolled: 1-line block ×3, first 2 shown]
	v_add_f64_e32 v[2:3], v[2:3], v[138:139]
	v_fma_f64 v[10:11], v[71:72], s[20:21], v[10:11]
	ds_store_b128 v68, v[28:31]
	ds_store_b128 v68, v[20:23] offset:80
	ds_store_b128 v68, v[24:27] offset:160
	ds_store_b128 v68, v[36:39] offset:240
	ds_store_b128 v68, v[48:51] offset:320
	ds_store_b128 v68, v[16:19] offset:400
	ds_store_b128 v68, v[88:91] offset:480
	ds_store_b128 v68, v[100:103] offset:560
	ds_store_b128 v68, v[112:115] offset:640
	ds_store_b128 v68, v[0:3] offset:720
	ds_store_b128 v68, v[120:123] offset:800
	ds_store_b128 v68, v[64:67] offset:880
	ds_store_b128 v68, v[124:127] offset:1600
	ds_store_b128 v68, v[77:80] offset:1680
	ds_store_b128 v68, v[32:35] offset:960
	ds_store_b128 v68, v[40:43] offset:1040
	ds_store_b128 v68, v[60:63] offset:1760
	ds_store_b128 v68, v[44:47] offset:1840
	ds_store_b128 v68, v[52:55] offset:1120
	ds_store_b128 v68, v[73:76] offset:1200
	ds_store_b128 v68, v[56:59] offset:1920
	ds_store_b128 v68, v[84:87] offset:2000
	ds_store_b128 v68, v[92:95] offset:1280
	ds_store_b128 v68, v[104:107] offset:1360
	ds_store_b128 v68, v[96:99] offset:2080
	ds_store_b128 v68, v[108:111] offset:2160
	ds_store_b128 v68, v[116:119] offset:1440
	ds_store_b128 v68, v[4:7] offset:1520
	ds_store_b128 v68, v[12:15] offset:2240
	ds_store_b128 v68, v[8:11] offset:2320
	global_wb scope:SCOPE_SE
	s_wait_storecnt_dscnt 0x0
	s_barrier_signal -1
	s_barrier_wait -1
	global_inv scope:SCOPE_SE
	global_load_b128 v[4:7], v82, s[8:9] offset:2400
	ds_load_b128 v[0:3], v68
	ds_load_b128 v[62:65], v68 offset:80
	s_add_nc_u64 s[8:9], s[8:9], 0x960
	ds_load_b128 v[14:17], v68 offset:480
	ds_load_b128 v[116:119], v68 offset:400
	;; [unrolled: 1-line block ×21, first 2 shown]
	s_wait_loadcnt_dscnt 0x16
	v_mul_f64_e32 v[8:9], v[2:3], v[6:7]
	v_mul_f64_e32 v[6:7], v[0:1], v[6:7]
	s_delay_alu instid0(VALU_DEP_2) | instskip(NEXT) | instid1(VALU_DEP_2)
	v_fma_f64 v[132:133], v[0:1], v[4:5], -v[8:9]
	v_fma_f64 v[134:135], v[2:3], v[4:5], v[6:7]
	global_load_b128 v[4:7], v82, s[8:9] offset:240
	ds_load_b128 v[8:11], v68 offset:240
	s_wait_loadcnt_dscnt 0x0
	v_mul_f64_e32 v[2:3], v[8:9], v[6:7]
	v_mul_f64_e32 v[0:1], v[10:11], v[6:7]
	s_delay_alu instid0(VALU_DEP_2)
	v_fma_f64 v[138:139], v[10:11], v[4:5], v[2:3]
	global_load_b128 v[10:13], v82, s[8:9] offset:480
	v_fma_f64 v[136:137], v[8:9], v[4:5], -v[0:1]
	s_wait_loadcnt 0x0
	v_mul_f64_e32 v[2:3], v[14:15], v[12:13]
	v_mul_f64_e32 v[0:1], v[16:17], v[12:13]
	s_delay_alu instid0(VALU_DEP_2)
	v_fma_f64 v[71:72], v[16:17], v[10:11], v[2:3]
	global_load_b128 v[16:19], v82, s[8:9] offset:720
	v_fma_f64 v[69:70], v[14:15], v[10:11], -v[0:1]
	global_load_b128 v[8:11], v82, s[8:9] offset:1600
	s_wait_loadcnt 0x1
	v_mul_f64_e32 v[2:3], v[20:21], v[18:19]
	v_mul_f64_e32 v[0:1], v[22:23], v[18:19]
	s_delay_alu instid0(VALU_DEP_2)
	v_fma_f64 v[130:131], v[22:23], v[16:17], v[2:3]
	global_load_b128 v[22:25], v82, s[8:9] offset:960
	v_fma_f64 v[128:129], v[20:21], v[16:17], -v[0:1]
	s_wait_loadcnt 0x0
	v_mul_f64_e32 v[0:1], v[28:29], v[24:25]
	v_mul_f64_e32 v[2:3], v[26:27], v[24:25]
	s_delay_alu instid0(VALU_DEP_2) | instskip(NEXT) | instid1(VALU_DEP_2)
	v_fma_f64 v[24:25], v[26:27], v[22:23], -v[0:1]
	v_fma_f64 v[26:27], v[28:29], v[22:23], v[2:3]
	global_load_b128 v[28:31], v82, s[8:9] offset:1200
	s_wait_loadcnt 0x0
	v_mul_f64_e32 v[0:1], v[34:35], v[30:31]
	v_mul_f64_e32 v[2:3], v[32:33], v[30:31]
	s_delay_alu instid0(VALU_DEP_2) | instskip(NEXT) | instid1(VALU_DEP_2)
	v_fma_f64 v[30:31], v[32:33], v[28:29], -v[0:1]
	v_fma_f64 v[32:33], v[34:35], v[28:29], v[2:3]
	global_load_b128 v[34:37], v82, s[8:9] offset:1440
	;; [unrolled: 7-line block ×20, first 2 shown]
	ds_load_b128 v[0:3], v68 offset:1120
	s_wait_loadcnt_dscnt 0x0
	v_mul_f64_e32 v[4:5], v[2:3], v[66:67]
	v_mul_f64_e32 v[6:7], v[0:1], v[66:67]
	s_delay_alu instid0(VALU_DEP_2) | instskip(NEXT) | instid1(VALU_DEP_2)
	v_fma_f64 v[16:17], v[0:1], v[64:65], -v[4:5]
	v_fma_f64 v[18:19], v[2:3], v[64:65], v[6:7]
	global_load_b128 v[64:67], v82, s[8:9] offset:1360
	ds_load_b128 v[0:3], v68 offset:1360
	s_wait_loadcnt_dscnt 0x0
	v_mul_f64_e32 v[4:5], v[2:3], v[66:67]
	v_mul_f64_e32 v[6:7], v[0:1], v[66:67]
	s_delay_alu instid0(VALU_DEP_2) | instskip(NEXT) | instid1(VALU_DEP_2)
	v_fma_f64 v[12:13], v[0:1], v[64:65], -v[4:5]
	v_fma_f64 v[14:15], v[2:3], v[64:65], v[6:7]
	ds_load_b128 v[64:67], v68 offset:1600
	s_wait_dscnt 0x0
	v_mul_f64_e32 v[0:1], v[66:67], v[10:11]
	v_mul_f64_e32 v[2:3], v[64:65], v[10:11]
	s_delay_alu instid0(VALU_DEP_2) | instskip(NEXT) | instid1(VALU_DEP_2)
	v_fma_f64 v[64:65], v[64:65], v[8:9], -v[0:1]
	v_fma_f64 v[66:67], v[66:67], v[8:9], v[2:3]
	global_load_b128 v[8:11], v82, s[8:9] offset:1840
	ds_load_b128 v[0:3], v68 offset:1840
	s_wait_loadcnt_dscnt 0x0
	v_mul_f64_e32 v[4:5], v[2:3], v[10:11]
	v_mul_f64_e32 v[6:7], v[0:1], v[10:11]
	s_delay_alu instid0(VALU_DEP_2) | instskip(NEXT) | instid1(VALU_DEP_2)
	v_fma_f64 v[4:5], v[0:1], v[8:9], -v[4:5]
	v_fma_f64 v[6:7], v[2:3], v[8:9], v[6:7]
	global_load_b128 v[8:11], v82, s[8:9] offset:2080
	ds_load_b128 v[0:3], v68 offset:2080
	s_wait_loadcnt_dscnt 0x0
	v_mul_f64_e32 v[20:21], v[2:3], v[10:11]
	v_mul_f64_e32 v[10:11], v[0:1], v[10:11]
	s_delay_alu instid0(VALU_DEP_2) | instskip(NEXT) | instid1(VALU_DEP_2)
	v_fma_f64 v[0:1], v[0:1], v[8:9], -v[20:21]
	v_fma_f64 v[2:3], v[2:3], v[8:9], v[10:11]
	global_load_b128 v[8:11], v82, s[8:9] offset:2320
	ds_load_b128 v[20:23], v68 offset:2320
	s_mul_i32 s8, s5, 0xfffff7e0
	s_delay_alu instid0(SALU_CYCLE_1) | instskip(SKIP_3) | instid1(VALU_DEP_2)
	s_sub_co_i32 s8, s8, s4
	s_wait_loadcnt_dscnt 0x0
	v_mul_f64_e32 v[28:29], v[22:23], v[10:11]
	v_mul_f64_e32 v[10:11], v[20:21], v[10:11]
	v_fma_f64 v[20:21], v[20:21], v[8:9], -v[28:29]
	s_delay_alu instid0(VALU_DEP_2)
	v_fma_f64 v[22:23], v[22:23], v[8:9], v[10:11]
	ds_store_b128 v68, v[132:135]
	ds_store_b128 v68, v[60:63] offset:80
	ds_store_b128 v68, v[69:72] offset:480
	;; [unrolled: 1-line block ×29, first 2 shown]
	global_wb scope:SCOPE_SE
	s_wait_dscnt 0x0
	s_barrier_signal -1
	s_barrier_wait -1
	global_inv scope:SCOPE_SE
	ds_load_b128 v[0:3], v68 offset:480
	ds_load_b128 v[4:7], v68
	ds_load_b128 v[8:11], v68 offset:960
	s_wait_dscnt 0x1
	v_add_f64_e32 v[12:13], v[4:5], v[0:1]
	s_wait_dscnt 0x0
	v_add_f64_e64 v[24:25], v[0:1], -v[8:9]
	v_add_f64_e64 v[26:27], v[8:9], -v[0:1]
	;; [unrolled: 1-line block ×4, first 2 shown]
	v_add_f64_e32 v[16:17], v[12:13], v[8:9]
	v_add_f64_e32 v[12:13], v[6:7], v[2:3]
	s_delay_alu instid0(VALU_DEP_1)
	v_add_f64_e32 v[18:19], v[12:13], v[10:11]
	ds_load_b128 v[12:15], v68 offset:1440
	s_wait_dscnt 0x0
	v_add_f64_e32 v[20:21], v[8:9], v[12:13]
	v_add_f64_e64 v[22:23], v[10:11], -v[14:15]
	v_add_f64_e32 v[28:29], v[10:11], v[14:15]
	v_add_f64_e64 v[30:31], v[8:9], -v[12:13]
	ds_load_b128 v[8:11], v68 offset:1920
	s_wait_dscnt 0x0
	v_add_f64_e64 v[36:37], v[2:3], -v[10:11]
	v_add_f64_e32 v[38:39], v[0:1], v[8:9]
	v_add_f64_e64 v[40:41], v[0:1], -v[8:9]
	v_add_f64_e32 v[42:43], v[2:3], v[10:11]
	v_add_f64_e32 v[0:1], v[16:17], v[12:13]
	;; [unrolled: 1-line block ×3, first 2 shown]
	v_add_f64_e64 v[44:45], v[8:9], -v[12:13]
	v_add_f64_e64 v[60:61], v[12:13], -v[8:9]
	;; [unrolled: 1-line block ×4, first 2 shown]
	v_fma_f64 v[20:21], v[20:21], -0.5, v[4:5]
	v_fma_f64 v[28:29], v[28:29], -0.5, v[6:7]
	;; [unrolled: 1-line block ×4, first 2 shown]
	v_add_f64_e32 v[48:49], v[0:1], v[8:9]
	v_add_f64_e32 v[50:51], v[2:3], v[10:11]
	ds_load_b128 v[0:3], v68 offset:720
	ds_load_b128 v[8:11], v68 offset:240
	;; [unrolled: 1-line block ×3, first 2 shown]
	v_add_f64_e32 v[26:27], v[26:27], v[60:61]
	s_wait_dscnt 0x1
	v_add_f64_e32 v[16:17], v[8:9], v[0:1]
	s_wait_dscnt 0x0
	v_add_f64_e64 v[64:65], v[0:1], -v[12:13]
	v_add_f64_e64 v[66:67], v[12:13], -v[0:1]
	;; [unrolled: 1-line block ×4, first 2 shown]
	v_add_f64_e32 v[52:53], v[16:17], v[12:13]
	v_add_f64_e32 v[16:17], v[10:11], v[2:3]
	s_delay_alu instid0(VALU_DEP_1)
	v_add_f64_e32 v[54:55], v[16:17], v[14:15]
	ds_load_b128 v[16:19], v68 offset:1680
	s_wait_dscnt 0x0
	v_add_f64_e32 v[58:59], v[14:15], v[18:19]
	v_add_f64_e32 v[52:53], v[52:53], v[16:17]
	;; [unrolled: 1-line block ×3, first 2 shown]
	v_add_f64_e64 v[77:78], v[14:15], -v[18:19]
	v_add_f64_e64 v[79:80], v[12:13], -v[16:17]
	ds_load_b128 v[12:15], v68 offset:2160
	v_add_f64_e32 v[54:55], v[54:55], v[18:19]
	s_wait_dscnt 0x0
	v_add_f64_e32 v[73:74], v[0:1], v[12:13]
	v_add_f64_e64 v[0:1], v[0:1], -v[12:13]
	v_add_f64_e64 v[75:76], v[12:13], -v[16:17]
	;; [unrolled: 1-line block ×4, first 2 shown]
	v_add_f64_e32 v[2:3], v[2:3], v[14:15]
	v_add_f64_e64 v[86:87], v[14:15], -v[18:19]
	v_add_f64_e64 v[18:19], v[18:19], -v[14:15]
	v_fma_f64 v[38:39], v[58:59], -0.5, v[10:11]
	v_add_f64_e32 v[12:13], v[52:53], v[12:13]
	v_fma_f64 v[42:43], v[56:57], -0.5, v[8:9]
	v_add_f64_e32 v[14:15], v[54:55], v[14:15]
	;; [unrolled: 2-line block ×4, first 2 shown]
	v_add_f64_e32 v[24:25], v[69:70], v[86:87]
	v_add_f64_e32 v[18:19], v[71:72], v[18:19]
	;; [unrolled: 1-line block ×3, first 2 shown]
	v_add_f64_e64 v[52:53], v[48:49], -v[12:13]
	v_add_f64_e32 v[12:13], v[32:33], v[46:47]
	v_fma_f64 v[32:33], v[0:1], s[16:17], v[38:39]
	v_fma_f64 v[44:45], v[84:85], s[18:19], v[42:43]
	v_add_f64_e32 v[58:59], v[50:51], v[14:15]
	v_add_f64_e64 v[54:55], v[50:51], -v[14:15]
	v_add_f64_e32 v[14:15], v[64:65], v[75:76]
	v_fma_f64 v[60:61], v[77:78], s[16:17], v[8:9]
	v_fma_f64 v[8:9], v[77:78], s[18:19], v[8:9]
	;; [unrolled: 1-line block ×4, first 2 shown]
	s_delay_alu instid0(VALU_DEP_4) | instskip(NEXT) | instid1(VALU_DEP_4)
	v_fma_f64 v[60:61], v[84:85], s[14:15], v[60:61]
	v_fma_f64 v[8:9], v[84:85], s[12:13], v[8:9]
	s_delay_alu instid0(VALU_DEP_4) | instskip(NEXT) | instid1(VALU_DEP_4)
	v_fma_f64 v[32:33], v[24:25], s[2:3], v[32:33]
	v_fma_f64 v[44:45], v[14:15], s[2:3], v[44:45]
	s_delay_alu instid0(VALU_DEP_4) | instskip(NEXT) | instid1(VALU_DEP_4)
	v_fma_f64 v[60:61], v[16:17], s[2:3], v[60:61]
	v_fma_f64 v[8:9], v[16:17], s[2:3], v[8:9]
	s_delay_alu instid0(VALU_DEP_4) | instskip(NEXT) | instid1(VALU_DEP_1)
	v_mul_f64_e32 v[46:47], s[14:15], v[32:33]
	v_fma_f64 v[48:49], v[44:45], s[22:23], v[46:47]
	v_mul_f64_e32 v[44:45], s[12:13], v[44:45]
	v_fma_f64 v[46:47], v[40:41], s[16:17], v[28:29]
	s_delay_alu instid0(VALU_DEP_2) | instskip(SKIP_1) | instid1(VALU_DEP_3)
	v_fma_f64 v[32:33], v[32:33], s[22:23], v[44:45]
	v_fma_f64 v[44:45], v[36:37], s[18:19], v[20:21]
	;; [unrolled: 1-line block ×3, first 2 shown]
	s_delay_alu instid0(VALU_DEP_2) | instskip(NEXT) | instid1(VALU_DEP_2)
	v_fma_f64 v[44:45], v[22:23], s[14:15], v[44:45]
	v_fma_f64 v[64:65], v[12:13], s[2:3], v[46:47]
	s_delay_alu instid0(VALU_DEP_2) | instskip(NEXT) | instid1(VALU_DEP_2)
	v_fma_f64 v[50:51], v[10:11], s[2:3], v[44:45]
	v_add_f64_e32 v[46:47], v[64:65], v[32:33]
	s_delay_alu instid0(VALU_DEP_2)
	v_add_f64_e32 v[44:45], v[50:51], v[48:49]
	v_add_f64_e64 v[48:49], v[50:51], -v[48:49]
	v_add_f64_e64 v[50:51], v[64:65], -v[32:33]
	v_add_f64_e32 v[32:33], v[34:35], v[62:63]
	v_fma_f64 v[34:35], v[79:80], s[18:19], v[2:3]
	v_fma_f64 v[2:3], v[79:80], s[16:17], v[2:3]
	s_delay_alu instid0(VALU_DEP_2) | instskip(NEXT) | instid1(VALU_DEP_2)
	v_fma_f64 v[34:35], v[0:1], s[12:13], v[34:35]
	v_fma_f64 v[2:3], v[0:1], s[14:15], v[2:3]
	;; [unrolled: 1-line block ×3, first 2 shown]
	s_delay_alu instid0(VALU_DEP_3) | instskip(NEXT) | instid1(VALU_DEP_3)
	v_fma_f64 v[34:35], v[18:19], s[2:3], v[34:35]
	v_fma_f64 v[2:3], v[18:19], s[2:3], v[2:3]
	s_delay_alu instid0(VALU_DEP_3) | instskip(NEXT) | instid1(VALU_DEP_3)
	v_fma_f64 v[0:1], v[79:80], s[14:15], v[0:1]
	v_mul_f64_e32 v[62:63], s[18:19], v[34:35]
	v_mul_f64_e32 v[34:35], s[2:3], v[34:35]
	s_delay_alu instid0(VALU_DEP_4)
	v_mul_f64_e32 v[16:17], s[18:19], v[2:3]
	v_mul_f64_e32 v[2:3], s[24:25], v[2:3]
	v_fma_f64 v[0:1], v[24:25], s[2:3], v[0:1]
	v_fma_f64 v[64:65], v[60:61], s[2:3], v[62:63]
	v_fma_f64 v[62:63], v[30:31], s[18:19], v[6:7]
	v_fma_f64 v[6:7], v[30:31], s[16:17], v[6:7]
	v_fma_f64 v[34:35], v[60:61], s[16:17], v[34:35]
	v_fma_f64 v[60:61], v[22:23], s[16:17], v[4:5]
	v_fma_f64 v[4:5], v[22:23], s[18:19], v[4:5]
	v_fma_f64 v[2:3], v[8:9], s[16:17], v[2:3]
	v_fma_f64 v[16:17], v[8:9], s[24:25], v[16:17]
	v_mul_f64_e32 v[8:9], s[14:15], v[0:1]
	v_mul_f64_e32 v[0:1], s[26:27], v[0:1]
	v_fma_f64 v[62:63], v[40:41], s[12:13], v[62:63]
	v_fma_f64 v[6:7], v[40:41], s[14:15], v[6:7]
	;; [unrolled: 1-line block ×4, first 2 shown]
	s_delay_alu instid0(VALU_DEP_4) | instskip(NEXT) | instid1(VALU_DEP_4)
	v_fma_f64 v[69:70], v[32:33], s[2:3], v[62:63]
	v_fma_f64 v[6:7], v[32:33], s[2:3], v[6:7]
	s_delay_alu instid0(VALU_DEP_4) | instskip(NEXT) | instid1(VALU_DEP_4)
	v_fma_f64 v[66:67], v[26:27], s[2:3], v[60:61]
	v_fma_f64 v[4:5], v[26:27], s[2:3], v[4:5]
	s_delay_alu instid0(VALU_DEP_4) | instskip(NEXT) | instid1(VALU_DEP_4)
	v_add_f64_e32 v[62:63], v[69:70], v[34:35]
	v_add_f64_e32 v[71:72], v[6:7], v[2:3]
	v_add_f64_e64 v[75:76], v[6:7], -v[2:3]
	v_fma_f64 v[6:7], v[84:85], s[16:17], v[42:43]
	v_add_f64_e32 v[60:61], v[66:67], v[64:65]
	v_add_f64_e64 v[64:65], v[66:67], -v[64:65]
	v_add_f64_e64 v[66:67], v[69:70], -v[34:35]
	v_add_f64_e32 v[69:70], v[4:5], v[16:17]
	v_add_f64_e64 v[73:74], v[4:5], -v[16:17]
	v_fma_f64 v[2:3], v[36:37], s[16:17], v[20:21]
	v_fma_f64 v[4:5], v[40:41], s[18:19], v[28:29]
	;; [unrolled: 1-line block ×3, first 2 shown]
	s_delay_alu instid0(VALU_DEP_3) | instskip(NEXT) | instid1(VALU_DEP_3)
	v_fma_f64 v[2:3], v[22:23], s[12:13], v[2:3]
	v_fma_f64 v[4:5], v[30:31], s[14:15], v[4:5]
	s_delay_alu instid0(VALU_DEP_3) | instskip(NEXT) | instid1(VALU_DEP_3)
	v_fma_f64 v[6:7], v[14:15], s[2:3], v[6:7]
	v_fma_f64 v[2:3], v[10:11], s[2:3], v[2:3]
	;; [unrolled: 3-line block ×3, first 2 shown]
	v_fma_f64 v[0:1], v[6:7], s[12:13], v[0:1]
	s_delay_alu instid0(VALU_DEP_2) | instskip(NEXT) | instid1(VALU_DEP_2)
	v_add_f64_e32 v[77:78], v[2:3], v[8:9]
	v_add_f64_e32 v[79:80], v[4:5], v[0:1]
	v_add_f64_e64 v[84:85], v[2:3], -v[8:9]
	v_add_f64_e64 v[86:87], v[4:5], -v[0:1]
	ds_load_b128 v[32:35], v68 offset:80
	ds_load_b128 v[88:91], v68 offset:560
	ds_load_b128 v[92:95], v68 offset:1040
	ds_load_b128 v[96:99], v68 offset:1520
	ds_load_b128 v[100:103], v68 offset:2000
	ds_load_b128 v[40:43], v68 offset:160
	ds_load_b128 v[4:7], v68 offset:640
	ds_load_b128 v[0:3], v68 offset:1120
	ds_load_b128 v[8:11], v68 offset:1600
	ds_load_b128 v[12:15], v68 offset:2080
	ds_load_b128 v[104:107], v68 offset:320
	ds_load_b128 v[36:39], v68 offset:400
	ds_load_b128 v[108:111], v68 offset:800
	ds_load_b128 v[20:23], v68 offset:880
	ds_load_b128 v[112:115], v68 offset:1280
	ds_load_b128 v[16:19], v68 offset:1360
	ds_load_b128 v[116:119], v68 offset:1760
	ds_load_b128 v[24:27], v68 offset:1840
	ds_load_b128 v[120:123], v68 offset:2240
	ds_load_b128 v[28:31], v68 offset:2320
	global_wb scope:SCOPE_SE
	s_wait_dscnt 0x0
	s_barrier_signal -1
	s_barrier_wait -1
	global_inv scope:SCOPE_SE
	ds_store_b128 v203, v[56:59]
	ds_store_b128 v203, v[52:55] offset:80
	ds_store_b128 v203, v[44:47] offset:16
	;; [unrolled: 1-line block ×9, first 2 shown]
	v_add_f64_e32 v[44:45], v[32:33], v[88:89]
	v_add_f64_e32 v[46:47], v[34:35], v[90:91]
	;; [unrolled: 1-line block ×4, first 2 shown]
	v_add_f64_e64 v[75:76], v[92:93], -v[96:97]
	v_add_f64_e64 v[64:65], v[100:101], -v[96:97]
	v_add_f64_e64 v[66:67], v[96:97], -v[100:101]
	v_add_f64_e32 v[86:87], v[106:107], v[110:111]
	v_add_f64_e64 v[73:74], v[94:95], -v[98:99]
	v_add_f64_e64 v[50:51], v[88:89], -v[92:93]
	v_add_f64_e64 v[56:57], v[92:93], -v[88:89]
	v_add_f64_e32 v[52:53], v[94:95], v[98:99]
	;; [unrolled: 4-line block ×3, first 2 shown]
	v_add_f64_e64 v[79:80], v[88:89], -v[100:101]
	v_add_f64_e32 v[62:63], v[90:91], v[102:103]
	v_add_f64_e64 v[69:70], v[102:103], -v[98:99]
	v_add_f64_e64 v[71:72], v[98:99], -v[102:103]
	v_add_f64_e32 v[88:89], v[112:113], v[116:117]
	v_add_f64_e64 v[90:91], v[114:115], -v[118:119]
	v_add_f64_e64 v[124:125], v[120:121], -v[116:117]
	;; [unrolled: 1-line block ×3, first 2 shown]
	v_add_f64_e32 v[44:45], v[44:45], v[92:93]
	v_add_f64_e32 v[46:47], v[46:47], v[94:95]
	;; [unrolled: 1-line block ×3, first 2 shown]
	v_add_f64_e64 v[92:93], v[108:109], -v[112:113]
	v_add_f64_e64 v[94:95], v[112:113], -v[108:109]
	v_add_f64_e32 v[86:87], v[86:87], v[114:115]
	v_fma_f64 v[128:129], v[52:53], -0.5, v[34:35]
	v_fma_f64 v[130:131], v[62:63], -0.5, v[34:35]
	;; [unrolled: 1-line block ×3, first 2 shown]
	v_add_f64_e32 v[44:45], v[44:45], v[96:97]
	v_add_f64_e32 v[46:47], v[46:47], v[98:99]
	;; [unrolled: 1-line block ×4, first 2 shown]
	v_add_f64_e64 v[98:99], v[112:113], -v[116:117]
	v_add_f64_e64 v[112:113], v[110:111], -v[122:123]
	;; [unrolled: 1-line block ×3, first 2 shown]
	v_add_f64_e32 v[86:87], v[86:87], v[118:119]
	v_add_f64_e64 v[118:119], v[118:119], -v[122:123]
	v_add_f64_e32 v[92:93], v[92:93], v[124:125]
	v_add_f64_e32 v[44:45], v[44:45], v[100:101]
	;; [unrolled: 1-line block ×3, first 2 shown]
	v_add_f64_e64 v[100:101], v[110:111], -v[114:115]
	v_add_f64_e64 v[102:103], v[114:115], -v[110:111]
	v_add_f64_e32 v[114:115], v[108:109], v[120:121]
	v_add_f64_e64 v[108:109], v[108:109], -v[120:121]
	v_fma_f64 v[96:97], v[96:97], -0.5, v[106:107]
	v_add_f64_e32 v[84:85], v[84:85], v[120:121]
	v_fma_f64 v[120:121], v[48:49], -0.5, v[32:33]
	v_add_f64_e32 v[110:111], v[110:111], v[122:123]
	v_add_f64_e32 v[86:87], v[86:87], v[122:123]
	v_fma_f64 v[122:123], v[60:61], -0.5, v[32:33]
	v_add_f64_e32 v[100:101], v[100:101], v[126:127]
	v_fma_f64 v[104:105], v[114:115], -0.5, v[104:105]
	v_fma_f64 v[48:49], v[108:109], s[16:17], v[96:97]
	v_add_f64_e32 v[32:33], v[44:45], v[84:85]
	v_add_f64_e64 v[44:45], v[44:45], -v[84:85]
	v_add_f64_e32 v[84:85], v[50:51], v[64:65]
	v_fma_f64 v[50:51], v[112:113], s[18:19], v[88:89]
	v_fma_f64 v[106:107], v[110:111], -0.5, v[106:107]
	v_add_f64_e32 v[34:35], v[46:47], v[86:87]
	v_add_f64_e64 v[46:47], v[46:47], -v[86:87]
	v_add_f64_e32 v[86:87], v[54:55], v[69:70]
	v_add_f64_e32 v[64:65], v[56:57], v[66:67]
	;; [unrolled: 1-line block ×5, first 2 shown]
	v_fma_f64 v[88:89], v[112:113], s[16:17], v[88:89]
	v_fma_f64 v[58:59], v[90:91], s[16:17], v[104:105]
	;; [unrolled: 1-line block ×5, first 2 shown]
	s_delay_alu instid0(VALU_DEP_4) | instskip(NEXT) | instid1(VALU_DEP_4)
	v_fma_f64 v[58:59], v[112:113], s[14:15], v[58:59]
	v_fma_f64 v[48:49], v[100:101], s[2:3], v[48:49]
	s_delay_alu instid0(VALU_DEP_4) | instskip(NEXT) | instid1(VALU_DEP_4)
	v_fma_f64 v[50:51], v[92:93], s[2:3], v[50:51]
	v_fma_f64 v[56:57], v[108:109], s[12:13], v[56:57]
	s_delay_alu instid0(VALU_DEP_4) | instskip(NEXT) | instid1(VALU_DEP_4)
	v_fma_f64 v[58:59], v[69:70], s[2:3], v[58:59]
	v_mul_f64_e32 v[52:53], s[14:15], v[48:49]
	s_delay_alu instid0(VALU_DEP_3) | instskip(NEXT) | instid1(VALU_DEP_2)
	v_fma_f64 v[56:57], v[71:72], s[2:3], v[56:57]
	v_fma_f64 v[52:53], v[50:51], s[22:23], v[52:53]
	v_mul_f64_e32 v[50:51], s[12:13], v[50:51]
	s_delay_alu instid0(VALU_DEP_1) | instskip(SKIP_2) | instid1(VALU_DEP_2)
	v_fma_f64 v[54:55], v[48:49], s[22:23], v[50:51]
	v_fma_f64 v[48:49], v[77:78], s[18:19], v[120:121]
	;; [unrolled: 1-line block ×4, first 2 shown]
	s_delay_alu instid0(VALU_DEP_2) | instskip(NEXT) | instid1(VALU_DEP_2)
	v_fma_f64 v[50:51], v[75:76], s[12:13], v[50:51]
	v_fma_f64 v[60:61], v[84:85], s[2:3], v[48:49]
	s_delay_alu instid0(VALU_DEP_2) | instskip(NEXT) | instid1(VALU_DEP_2)
	v_fma_f64 v[62:63], v[86:87], s[2:3], v[50:51]
	v_add_f64_e32 v[48:49], v[60:61], v[52:53]
	v_add_f64_e64 v[52:53], v[60:61], -v[52:53]
	v_mul_f64_e32 v[60:61], s[18:19], v[56:57]
	v_mul_f64_e32 v[56:57], s[2:3], v[56:57]
	v_add_f64_e32 v[50:51], v[62:63], v[54:55]
	v_add_f64_e64 v[54:55], v[62:63], -v[54:55]
	s_delay_alu instid0(VALU_DEP_4) | instskip(NEXT) | instid1(VALU_DEP_4)
	v_fma_f64 v[60:61], v[58:59], s[2:3], v[60:61]
	v_fma_f64 v[62:63], v[58:59], s[16:17], v[56:57]
	;; [unrolled: 1-line block ×4, first 2 shown]
	s_delay_alu instid0(VALU_DEP_2) | instskip(NEXT) | instid1(VALU_DEP_2)
	v_fma_f64 v[56:57], v[77:78], s[14:15], v[56:57]
	v_fma_f64 v[58:59], v[79:80], s[12:13], v[58:59]
	s_delay_alu instid0(VALU_DEP_2) | instskip(NEXT) | instid1(VALU_DEP_2)
	v_fma_f64 v[94:95], v[64:65], s[2:3], v[56:57]
	v_fma_f64 v[102:103], v[66:67], s[2:3], v[58:59]
	s_delay_alu instid0(VALU_DEP_2) | instskip(SKIP_2) | instid1(VALU_DEP_4)
	v_add_f64_e32 v[56:57], v[94:95], v[60:61]
	v_add_f64_e64 v[60:61], v[94:95], -v[60:61]
	v_fma_f64 v[94:95], v[73:74], s[18:19], v[122:123]
	v_add_f64_e32 v[58:59], v[102:103], v[62:63]
	v_add_f64_e64 v[62:63], v[102:103], -v[62:63]
	s_delay_alu instid0(VALU_DEP_3) | instskip(SKIP_1) | instid1(VALU_DEP_2)
	v_fma_f64 v[94:95], v[77:78], s[12:13], v[94:95]
	v_fma_f64 v[77:78], v[77:78], s[16:17], v[120:121]
	;; [unrolled: 1-line block ×4, first 2 shown]
	s_delay_alu instid0(VALU_DEP_3) | instskip(SKIP_1) | instid1(VALU_DEP_3)
	v_fma_f64 v[73:74], v[73:74], s[12:13], v[77:78]
	v_fma_f64 v[77:78], v[90:91], s[12:13], v[88:89]
	;; [unrolled: 1-line block ×4, first 2 shown]
	s_delay_alu instid0(VALU_DEP_4) | instskip(NEXT) | instid1(VALU_DEP_4)
	v_fma_f64 v[84:85], v[84:85], s[2:3], v[73:74]
	v_fma_f64 v[73:74], v[92:93], s[2:3], v[77:78]
	s_delay_alu instid0(VALU_DEP_4) | instskip(SKIP_3) | instid1(VALU_DEP_3)
	v_fma_f64 v[102:103], v[66:67], s[2:3], v[64:65]
	v_fma_f64 v[64:65], v[98:99], s[16:17], v[106:107]
	v_fma_f64 v[66:67], v[90:91], s[18:19], v[104:105]
	v_fma_f64 v[75:76], v[75:76], s[14:15], v[79:80]
	v_fma_f64 v[64:65], v[108:109], s[14:15], v[64:65]
	s_delay_alu instid0(VALU_DEP_3) | instskip(NEXT) | instid1(VALU_DEP_3)
	v_fma_f64 v[66:67], v[112:113], s[12:13], v[66:67]
	v_fma_f64 v[86:87], v[86:87], s[2:3], v[75:76]
	s_delay_alu instid0(VALU_DEP_3) | instskip(NEXT) | instid1(VALU_DEP_3)
	v_fma_f64 v[64:65], v[71:72], s[2:3], v[64:65]
	v_fma_f64 v[66:67], v[69:70], s[2:3], v[66:67]
	s_delay_alu instid0(VALU_DEP_2) | instskip(SKIP_1) | instid1(VALU_DEP_2)
	v_mul_f64_e32 v[69:70], s[18:19], v[64:65]
	v_mul_f64_e32 v[64:65], s[24:25], v[64:65]
	v_fma_f64 v[69:70], v[66:67], s[24:25], v[69:70]
	s_delay_alu instid0(VALU_DEP_2) | instskip(NEXT) | instid1(VALU_DEP_2)
	v_fma_f64 v[71:72], v[66:67], s[16:17], v[64:65]
	v_add_f64_e32 v[64:65], v[94:95], v[69:70]
	v_add_f64_e64 v[69:70], v[94:95], -v[69:70]
	v_fma_f64 v[94:95], v[108:109], s[18:19], v[96:97]
	s_delay_alu instid0(VALU_DEP_4) | instskip(SKIP_1) | instid1(VALU_DEP_3)
	v_add_f64_e32 v[66:67], v[102:103], v[71:72]
	v_add_f64_e64 v[71:72], v[102:103], -v[71:72]
	v_fma_f64 v[94:95], v[98:99], s[14:15], v[94:95]
	s_delay_alu instid0(VALU_DEP_1) | instskip(NEXT) | instid1(VALU_DEP_1)
	v_fma_f64 v[79:80], v[100:101], s[2:3], v[94:95]
	v_mul_f64_e32 v[75:76], s[14:15], v[79:80]
	v_mul_f64_e32 v[77:78], s[26:27], v[79:80]
	s_delay_alu instid0(VALU_DEP_2) | instskip(NEXT) | instid1(VALU_DEP_2)
	v_fma_f64 v[79:80], v[73:74], s[26:27], v[75:76]
	v_fma_f64 v[88:89], v[73:74], s[12:13], v[77:78]
	s_delay_alu instid0(VALU_DEP_2) | instskip(NEXT) | instid1(VALU_DEP_2)
	v_add_f64_e32 v[73:74], v[84:85], v[79:80]
	v_add_f64_e32 v[75:76], v[86:87], v[88:89]
	v_add_f64_e64 v[77:78], v[84:85], -v[79:80]
	v_add_f64_e64 v[79:80], v[86:87], -v[88:89]
	ds_store_b128 v81, v[32:35]
	ds_store_b128 v81, v[48:51] offset:16
	ds_store_b128 v81, v[56:59] offset:32
	;; [unrolled: 1-line block ×9, first 2 shown]
	v_add_f64_e32 v[32:33], v[40:41], v[4:5]
	v_add_f64_e32 v[34:35], v[42:43], v[6:7]
	;; [unrolled: 1-line block ×3, first 2 shown]
	v_add_f64_e64 v[48:49], v[4:5], -v[0:1]
	v_add_f64_e64 v[50:51], v[0:1], -v[4:5]
	;; [unrolled: 1-line block ×5, first 2 shown]
	v_add_f64_e32 v[52:53], v[2:3], v[10:11]
	v_add_f64_e64 v[56:57], v[6:7], -v[2:3]
	v_add_f64_e64 v[58:59], v[2:3], -v[6:7]
	;; [unrolled: 1-line block ×4, first 2 shown]
	v_add_f64_e32 v[73:74], v[18:19], v[26:27]
	v_add_f64_e64 v[66:67], v[18:19], -v[26:27]
	v_add_f64_e64 v[69:70], v[20:21], -v[16:17]
	;; [unrolled: 1-line block ×5, first 2 shown]
	v_add_f64_e32 v[79:80], v[20:21], v[28:29]
	v_add_f64_e64 v[81:82], v[20:21], -v[28:29]
	v_add_f64_e64 v[84:85], v[30:31], -v[26:27]
	v_add_f64_e32 v[32:33], v[32:33], v[0:1]
	v_add_f64_e32 v[34:35], v[34:35], v[2:3]
	;; [unrolled: 1-line block ×4, first 2 shown]
	v_fma_f64 v[44:45], v[44:45], -0.5, v[40:41]
	v_add_f64_e32 v[4:5], v[32:33], v[8:9]
	v_add_f64_e32 v[6:7], v[34:35], v[10:11]
	v_add_f64_e64 v[32:33], v[12:13], -v[8:9]
	v_add_f64_e64 v[34:35], v[8:9], -v[12:13]
	;; [unrolled: 1-line block ×3, first 2 shown]
	v_add_f64_e32 v[10:11], v[36:37], v[20:21]
	v_add_f64_e32 v[20:21], v[22:23], v[30:31]
	;; [unrolled: 1-line block ×8, first 2 shown]
	v_add_f64_e64 v[16:17], v[22:23], -v[18:19]
	v_add_f64_e32 v[48:49], v[56:57], v[8:9]
	v_add_f64_e32 v[34:35], v[50:51], v[34:35]
	;; [unrolled: 1-line block ×4, first 2 shown]
	v_add_f64_e64 v[18:19], v[18:19], -v[22:23]
	v_add_f64_e64 v[22:23], v[28:29], -v[24:25]
	v_add_f64_e32 v[10:11], v[10:11], v[24:25]
	v_add_f64_e64 v[24:25], v[24:25], -v[28:29]
	v_add_f64_e32 v[12:13], v[12:13], v[26:27]
	v_add_f64_e64 v[26:27], v[26:27], -v[30:31]
	v_add_f64_e32 v[56:57], v[69:70], v[22:23]
	v_add_f64_e32 v[69:70], v[16:17], v[84:85]
	v_add_f64_e32 v[10:11], v[10:11], v[28:29]
	v_fma_f64 v[28:29], v[0:1], -0.5, v[40:41]
	v_fma_f64 v[40:41], v[52:53], -0.5, v[42:43]
	;; [unrolled: 1-line block ×4, first 2 shown]
	v_add_f64_e32 v[24:25], v[71:72], v[24:25]
	v_add_f64_e32 v[12:13], v[12:13], v[30:31]
	v_fma_f64 v[30:31], v[2:3], -0.5, v[42:43]
	v_fma_f64 v[42:43], v[73:74], -0.5, v[38:39]
	v_fma_f64 v[38:39], v[20:21], -0.5, v[38:39]
	v_add_f64_e32 v[0:1], v[4:5], v[10:11]
	v_add_f64_e64 v[4:5], v[4:5], -v[10:11]
	v_add_f64_e32 v[26:27], v[18:19], v[26:27]
	v_fma_f64 v[10:11], v[77:78], s[18:19], v[52:53]
	v_fma_f64 v[18:19], v[66:67], s[16:17], v[36:37]
	v_add_f64_e32 v[2:3], v[6:7], v[12:13]
	v_add_f64_e64 v[6:7], v[6:7], -v[12:13]
	v_fma_f64 v[8:9], v[81:82], s[16:17], v[42:43]
	v_fma_f64 v[10:11], v[66:67], s[14:15], v[10:11]
	;; [unrolled: 1-line block ×3, first 2 shown]
	s_delay_alu instid0(VALU_DEP_3) | instskip(NEXT) | instid1(VALU_DEP_3)
	v_fma_f64 v[8:9], v[75:76], s[12:13], v[8:9]
	v_fma_f64 v[10:11], v[56:57], s[2:3], v[10:11]
	s_delay_alu instid0(VALU_DEP_3) | instskip(NEXT) | instid1(VALU_DEP_3)
	v_fma_f64 v[18:19], v[24:25], s[2:3], v[18:19]
	v_fma_f64 v[8:9], v[69:70], s[2:3], v[8:9]
	s_delay_alu instid0(VALU_DEP_1) | instskip(NEXT) | instid1(VALU_DEP_1)
	v_mul_f64_e32 v[12:13], s[14:15], v[8:9]
	v_fma_f64 v[12:13], v[10:11], s[22:23], v[12:13]
	v_mul_f64_e32 v[10:11], s[12:13], v[10:11]
	s_delay_alu instid0(VALU_DEP_1) | instskip(SKIP_2) | instid1(VALU_DEP_2)
	v_fma_f64 v[14:15], v[8:9], s[22:23], v[10:11]
	v_fma_f64 v[8:9], v[60:61], s[18:19], v[44:45]
	;; [unrolled: 1-line block ×4, first 2 shown]
	s_delay_alu instid0(VALU_DEP_2) | instskip(NEXT) | instid1(VALU_DEP_2)
	v_fma_f64 v[10:11], v[54:55], s[12:13], v[10:11]
	v_fma_f64 v[16:17], v[32:33], s[2:3], v[8:9]
	s_delay_alu instid0(VALU_DEP_2) | instskip(NEXT) | instid1(VALU_DEP_2)
	v_fma_f64 v[20:21], v[48:49], s[2:3], v[10:11]
	v_add_f64_e32 v[8:9], v[16:17], v[12:13]
	v_add_f64_e64 v[12:13], v[16:17], -v[12:13]
	v_fma_f64 v[16:17], v[75:76], s[18:19], v[38:39]
	s_delay_alu instid0(VALU_DEP_4) | instskip(SKIP_1) | instid1(VALU_DEP_3)
	v_add_f64_e32 v[10:11], v[20:21], v[14:15]
	v_add_f64_e64 v[14:15], v[20:21], -v[14:15]
	v_fma_f64 v[16:17], v[81:82], s[12:13], v[16:17]
	s_delay_alu instid0(VALU_DEP_1) | instskip(NEXT) | instid1(VALU_DEP_1)
	v_fma_f64 v[16:17], v[26:27], s[2:3], v[16:17]
	v_mul_f64_e32 v[20:21], s[18:19], v[16:17]
	v_mul_f64_e32 v[16:17], s[2:3], v[16:17]
	s_delay_alu instid0(VALU_DEP_2) | instskip(NEXT) | instid1(VALU_DEP_2)
	v_fma_f64 v[20:21], v[18:19], s[2:3], v[20:21]
	v_fma_f64 v[22:23], v[18:19], s[16:17], v[16:17]
	;; [unrolled: 1-line block ×6, first 2 shown]
	s_delay_alu instid0(VALU_DEP_4) | instskip(NEXT) | instid1(VALU_DEP_4)
	v_fma_f64 v[16:17], v[60:61], s[14:15], v[16:17]
	v_fma_f64 v[28:29], v[60:61], s[12:13], v[28:29]
	s_delay_alu instid0(VALU_DEP_4) | instskip(NEXT) | instid1(VALU_DEP_4)
	v_fma_f64 v[18:19], v[62:63], s[12:13], v[18:19]
	v_fma_f64 v[30:31], v[62:63], s[14:15], v[30:31]
	;; [unrolled: 3-line block ×3, first 2 shown]
	v_fma_f64 v[34:35], v[75:76], s[16:17], v[38:39]
	s_delay_alu instid0(VALU_DEP_4)
	v_fma_f64 v[30:31], v[50:51], s[2:3], v[30:31]
	v_fma_f64 v[38:39], v[62:63], s[18:19], v[40:41]
	;; [unrolled: 1-line block ×4, first 2 shown]
	v_add_f64_e32 v[16:17], v[58:59], v[20:21]
	v_add_f64_e64 v[20:21], v[58:59], -v[20:21]
	v_fma_f64 v[34:35], v[81:82], s[14:15], v[34:35]
	v_fma_f64 v[38:39], v[54:55], s[14:15], v[38:39]
	;; [unrolled: 1-line block ×3, first 2 shown]
	v_add_f64_e32 v[18:19], v[64:65], v[22:23]
	v_add_f64_e64 v[22:23], v[64:65], -v[22:23]
	v_fma_f64 v[26:27], v[26:27], s[2:3], v[34:35]
	v_fma_f64 v[34:35], v[66:67], s[18:19], v[36:37]
	;; [unrolled: 1-line block ×3, first 2 shown]
	s_delay_alu instid0(VALU_DEP_2) | instskip(NEXT) | instid1(VALU_DEP_1)
	v_fma_f64 v[34:35], v[77:78], s[12:13], v[34:35]
	v_fma_f64 v[24:25], v[24:25], s[2:3], v[34:35]
	v_mul_f64_e32 v[34:35], s[18:19], v[26:27]
	v_mul_f64_e32 v[26:27], s[24:25], v[26:27]
	s_delay_alu instid0(VALU_DEP_2) | instskip(NEXT) | instid1(VALU_DEP_2)
	v_fma_f64 v[34:35], v[24:25], s[24:25], v[34:35]
	v_fma_f64 v[36:37], v[24:25], s[16:17], v[26:27]
	s_delay_alu instid0(VALU_DEP_2) | instskip(SKIP_2) | instid1(VALU_DEP_4)
	v_add_f64_e32 v[24:25], v[28:29], v[34:35]
	v_add_f64_e64 v[28:29], v[28:29], -v[34:35]
	v_fma_f64 v[34:35], v[81:82], s[18:19], v[42:43]
	v_add_f64_e32 v[26:27], v[30:31], v[36:37]
	v_add_f64_e64 v[30:31], v[30:31], -v[36:37]
	v_fma_f64 v[36:37], v[60:61], s[16:17], v[44:45]
	s_delay_alu instid0(VALU_DEP_4) | instskip(NEXT) | instid1(VALU_DEP_2)
	v_fma_f64 v[34:35], v[75:76], s[14:15], v[34:35]
	v_fma_f64 v[36:37], v[46:47], s[12:13], v[36:37]
	s_delay_alu instid0(VALU_DEP_2) | instskip(NEXT) | instid1(VALU_DEP_2)
	v_fma_f64 v[34:35], v[69:70], s[2:3], v[34:35]
	v_fma_f64 v[36:37], v[32:33], s[2:3], v[36:37]
	;; [unrolled: 1-line block ×3, first 2 shown]
	s_delay_alu instid0(VALU_DEP_3) | instskip(SKIP_1) | instid1(VALU_DEP_2)
	v_mul_f64_e32 v[40:41], s[14:15], v[34:35]
	v_mul_f64_e32 v[34:35], s[26:27], v[34:35]
	v_fma_f64 v[40:41], v[32:33], s[26:27], v[40:41]
	s_delay_alu instid0(VALU_DEP_2) | instskip(NEXT) | instid1(VALU_DEP_2)
	v_fma_f64 v[42:43], v[32:33], s[12:13], v[34:35]
	v_add_f64_e32 v[32:33], v[36:37], v[40:41]
	s_delay_alu instid0(VALU_DEP_2)
	v_add_f64_e32 v[34:35], v[38:39], v[42:43]
	v_add_f64_e64 v[36:37], v[36:37], -v[40:41]
	v_add_f64_e64 v[38:39], v[38:39], -v[42:43]
	ds_store_b128 v83, v[0:3]
	ds_store_b128 v83, v[8:11] offset:16
	ds_store_b128 v83, v[16:19] offset:32
	;; [unrolled: 1-line block ×9, first 2 shown]
	global_wb scope:SCOPE_SE
	s_wait_dscnt 0x0
	s_barrier_signal -1
	s_barrier_wait -1
	global_inv scope:SCOPE_SE
	ds_load_b128 v[0:3], v68 offset:480
	scratch_load_b128 v[6:9], off, off offset:496 th:TH_LOAD_LU ; 16-byte Folded Reload
	s_wait_dscnt 0x0
	v_mul_f64_e32 v[4:5], v[201:202], v[2:3]
	s_delay_alu instid0(VALU_DEP_1) | instskip(SKIP_1) | instid1(VALU_DEP_1)
	v_fma_f64 v[12:13], v[199:200], v[0:1], v[4:5]
	v_mul_f64_e32 v[0:1], v[201:202], v[0:1]
	v_fma_f64 v[14:15], v[199:200], v[2:3], -v[0:1]
	ds_load_b128 v[0:3], v68 offset:640
	s_wait_dscnt 0x0
	v_mul_f64_e32 v[4:5], v[201:202], v[2:3]
	s_delay_alu instid0(VALU_DEP_1) | instskip(SKIP_1) | instid1(VALU_DEP_1)
	v_fma_f64 v[44:45], v[199:200], v[0:1], v[4:5]
	v_mul_f64_e32 v[0:1], v[201:202], v[0:1]
	v_fma_f64 v[46:47], v[199:200], v[2:3], -v[0:1]
	ds_load_b128 v[0:3], v68 offset:960
	s_wait_dscnt 0x0
	v_mul_f64_e32 v[4:5], v[150:151], v[2:3]
	s_delay_alu instid0(VALU_DEP_1) | instskip(SKIP_1) | instid1(VALU_DEP_1)
	v_fma_f64 v[16:17], v[148:149], v[0:1], v[4:5]
	v_mul_f64_e32 v[0:1], v[150:151], v[0:1]
	v_fma_f64 v[18:19], v[148:149], v[2:3], -v[0:1]
	ds_load_b128 v[0:3], v68 offset:1120
	s_wait_dscnt 0x0
	v_mul_f64_e32 v[4:5], v[150:151], v[2:3]
	s_delay_alu instid0(VALU_DEP_1) | instskip(SKIP_1) | instid1(VALU_DEP_1)
	v_fma_f64 v[60:61], v[148:149], v[0:1], v[4:5]
	v_mul_f64_e32 v[0:1], v[150:151], v[0:1]
	v_fma_f64 v[62:63], v[148:149], v[2:3], -v[0:1]
	ds_load_b128 v[0:3], v68 offset:1440
	s_wait_dscnt 0x0
	v_mul_f64_e32 v[4:5], v[146:147], v[2:3]
	s_delay_alu instid0(VALU_DEP_1) | instskip(SKIP_1) | instid1(VALU_DEP_2)
	v_fma_f64 v[20:21], v[144:145], v[0:1], v[4:5]
	v_mul_f64_e32 v[0:1], v[146:147], v[0:1]
	v_add_f64_e64 v[97:98], v[16:17], -v[20:21]
	s_delay_alu instid0(VALU_DEP_2) | instskip(SKIP_4) | instid1(VALU_DEP_2)
	v_fma_f64 v[22:23], v[144:145], v[2:3], -v[0:1]
	ds_load_b128 v[0:3], v68 offset:1600
	s_wait_dscnt 0x0
	v_mul_f64_e32 v[4:5], v[146:147], v[2:3]
	v_add_f64_e64 v[93:94], v[18:19], -v[22:23]
	v_fma_f64 v[64:65], v[144:145], v[0:1], v[4:5]
	v_mul_f64_e32 v[0:1], v[146:147], v[0:1]
	s_delay_alu instid0(VALU_DEP_1) | instskip(SKIP_3) | instid1(VALU_DEP_1)
	v_fma_f64 v[66:67], v[144:145], v[2:3], -v[0:1]
	ds_load_b128 v[0:3], v68 offset:1920
	s_wait_dscnt 0x0
	v_mul_f64_e32 v[4:5], v[142:143], v[2:3]
	v_fma_f64 v[24:25], v[140:141], v[0:1], v[4:5]
	v_mul_f64_e32 v[0:1], v[142:143], v[0:1]
	s_delay_alu instid0(VALU_DEP_2) | instskip(NEXT) | instid1(VALU_DEP_2)
	v_add_f64_e64 v[95:96], v[12:13], -v[24:25]
	v_fma_f64 v[26:27], v[140:141], v[2:3], -v[0:1]
	ds_load_b128 v[0:3], v68 offset:2080
	s_wait_dscnt 0x0
	v_mul_f64_e32 v[4:5], v[142:143], v[2:3]
	v_add_f64_e64 v[91:92], v[14:15], -v[26:27]
	s_delay_alu instid0(VALU_DEP_2) | instskip(SKIP_1) | instid1(VALU_DEP_1)
	v_fma_f64 v[71:72], v[140:141], v[0:1], v[4:5]
	v_mul_f64_e32 v[0:1], v[142:143], v[0:1]
	v_fma_f64 v[73:74], v[140:141], v[2:3], -v[0:1]
	ds_load_b128 v[0:3], v68 offset:560
	s_wait_dscnt 0x0
	v_mul_f64_e32 v[4:5], v[158:159], v[2:3]
	s_delay_alu instid0(VALU_DEP_1) | instskip(SKIP_1) | instid1(VALU_DEP_1)
	v_fma_f64 v[28:29], v[156:157], v[0:1], v[4:5]
	v_mul_f64_e32 v[0:1], v[158:159], v[0:1]
	v_fma_f64 v[30:31], v[156:157], v[2:3], -v[0:1]
	ds_load_b128 v[0:3], v68 offset:720
	s_wait_dscnt 0x0
	v_mul_f64_e32 v[4:5], v[158:159], v[2:3]
	s_delay_alu instid0(VALU_DEP_1) | instskip(SKIP_1) | instid1(VALU_DEP_1)
	;; [unrolled: 7-line block ×3, first 2 shown]
	v_fma_f64 v[32:33], v[160:161], v[0:1], v[4:5]
	v_mul_f64_e32 v[0:1], v[162:163], v[0:1]
	v_fma_f64 v[34:35], v[160:161], v[2:3], -v[0:1]
	ds_load_b128 v[0:3], v68 offset:1200
	s_wait_dscnt 0x0
	v_mul_f64_e32 v[4:5], v[162:163], v[2:3]
	s_delay_alu instid0(VALU_DEP_1) | instskip(SKIP_1) | instid1(VALU_DEP_2)
	v_fma_f64 v[79:80], v[160:161], v[0:1], v[4:5]
	v_mul_f64_e32 v[0:1], v[162:163], v[0:1]
	v_add_f64_e64 v[103:104], v[79:80], -v[148:149]
	s_delay_alu instid0(VALU_DEP_2) | instskip(SKIP_3) | instid1(VALU_DEP_1)
	v_fma_f64 v[81:82], v[160:161], v[2:3], -v[0:1]
	ds_load_b128 v[0:3], v68 offset:1520
	s_wait_dscnt 0x0
	v_mul_f64_e32 v[4:5], v[166:167], v[2:3]
	v_fma_f64 v[36:37], v[164:165], v[0:1], v[4:5]
	v_mul_f64_e32 v[0:1], v[166:167], v[0:1]
	s_delay_alu instid0(VALU_DEP_1) | instskip(SKIP_3) | instid1(VALU_DEP_1)
	v_fma_f64 v[38:39], v[164:165], v[2:3], -v[0:1]
	ds_load_b128 v[0:3], v68 offset:1680
	s_wait_dscnt 0x0
	v_mul_f64_e32 v[4:5], v[166:167], v[2:3]
	v_fma_f64 v[83:84], v[164:165], v[0:1], v[4:5]
	v_mul_f64_e32 v[0:1], v[166:167], v[0:1]
	s_delay_alu instid0(VALU_DEP_2) | instskip(NEXT) | instid1(VALU_DEP_2)
	v_add_f64_e64 v[101:102], v[79:80], -v[83:84]
	v_fma_f64 v[85:86], v[164:165], v[2:3], -v[0:1]
	ds_load_b128 v[0:3], v68 offset:2000
	s_wait_dscnt 0x0
	v_mul_f64_e32 v[4:5], v[170:171], v[2:3]
	s_delay_alu instid0(VALU_DEP_1) | instskip(SKIP_1) | instid1(VALU_DEP_1)
	v_fma_f64 v[40:41], v[168:169], v[0:1], v[4:5]
	v_mul_f64_e32 v[0:1], v[170:171], v[0:1]
	v_fma_f64 v[42:43], v[168:169], v[2:3], -v[0:1]
	ds_load_b128 v[0:3], v68 offset:2160
	s_wait_dscnt 0x0
	v_mul_f64_e32 v[4:5], v[170:171], v[2:3]
	s_delay_alu instid0(VALU_DEP_1) | instskip(SKIP_1) | instid1(VALU_DEP_2)
	v_fma_f64 v[87:88], v[168:169], v[0:1], v[4:5]
	v_mul_f64_e32 v[0:1], v[170:171], v[0:1]
	v_add_f64_e64 v[99:100], v[148:149], -v[87:88]
	s_delay_alu instid0(VALU_DEP_2) | instskip(SKIP_3) | instid1(VALU_DEP_1)
	v_fma_f64 v[89:90], v[168:169], v[2:3], -v[0:1]
	ds_load_b128 v[0:3], v68 offset:800
	s_wait_loadcnt_dscnt 0x0
	v_mul_f64_e32 v[4:5], v[8:9], v[2:3]
	v_fma_f64 v[132:133], v[6:7], v[0:1], v[4:5]
	v_mul_f64_e32 v[0:1], v[8:9], v[0:1]
	s_delay_alu instid0(VALU_DEP_1) | instskip(SKIP_4) | instid1(VALU_DEP_1)
	v_fma_f64 v[130:131], v[6:7], v[2:3], -v[0:1]
	scratch_load_b128 v[6:9], off, off offset:512 th:TH_LOAD_LU ; 16-byte Folded Reload
	ds_load_b128 v[0:3], v68 offset:1280
	s_wait_loadcnt_dscnt 0x0
	v_mul_f64_e32 v[4:5], v[8:9], v[2:3]
	v_fma_f64 v[134:135], v[6:7], v[0:1], v[4:5]
	v_mul_f64_e32 v[0:1], v[8:9], v[0:1]
	s_delay_alu instid0(VALU_DEP_2) | instskip(NEXT) | instid1(VALU_DEP_2)
	v_add_f64_e64 v[111:112], v[132:133], -v[134:135]
	v_fma_f64 v[136:137], v[6:7], v[2:3], -v[0:1]
	scratch_load_b128 v[6:9], off, off offset:532 th:TH_LOAD_LU ; 16-byte Folded Reload
	ds_load_b128 v[0:3], v68 offset:1760
	v_add_f64_e64 v[113:114], v[130:131], -v[136:137]
	s_wait_loadcnt_dscnt 0x0
	v_mul_f64_e32 v[4:5], v[8:9], v[2:3]
	s_delay_alu instid0(VALU_DEP_1) | instskip(SKIP_1) | instid1(VALU_DEP_2)
	v_fma_f64 v[140:141], v[6:7], v[0:1], v[4:5]
	v_mul_f64_e32 v[0:1], v[8:9], v[0:1]
	v_add_f64_e64 v[107:108], v[134:135], -v[140:141]
	s_delay_alu instid0(VALU_DEP_2) | instskip(SKIP_4) | instid1(VALU_DEP_1)
	v_fma_f64 v[138:139], v[6:7], v[2:3], -v[0:1]
	scratch_load_b128 v[6:9], off, off offset:548 th:TH_LOAD_LU ; 16-byte Folded Reload
	ds_load_b128 v[0:3], v68 offset:2240
	s_wait_loadcnt_dscnt 0x0
	v_mul_f64_e32 v[4:5], v[8:9], v[2:3]
	v_fma_f64 v[142:143], v[6:7], v[0:1], v[4:5]
	v_mul_f64_e32 v[0:1], v[8:9], v[0:1]
	ds_load_b128 v[8:11], v68
	v_add_f64_e64 v[109:110], v[132:133], -v[142:143]
	v_fma_f64 v[144:145], v[6:7], v[2:3], -v[0:1]
	ds_load_b128 v[0:3], v68 offset:880
	v_add_f64_e64 v[115:116], v[142:143], -v[140:141]
	s_wait_dscnt 0x0
	v_mul_f64_e32 v[4:5], v[206:207], v[2:3]
	v_add_f64_e64 v[105:106], v[130:131], -v[144:145]
	v_add_f64_e64 v[117:118], v[144:145], -v[138:139]
	s_delay_alu instid0(VALU_DEP_3) | instskip(SKIP_1) | instid1(VALU_DEP_1)
	v_fma_f64 v[50:51], v[204:205], v[0:1], v[4:5]
	v_mul_f64_e32 v[0:1], v[206:207], v[0:1]
	v_fma_f64 v[48:49], v[204:205], v[2:3], -v[0:1]
	ds_load_b128 v[0:3], v68 offset:1360
	s_wait_dscnt 0x0
	v_mul_f64_e32 v[4:5], v[234:235], v[2:3]
	s_delay_alu instid0(VALU_DEP_1) | instskip(SKIP_1) | instid1(VALU_DEP_1)
	v_fma_f64 v[54:55], v[232:233], v[0:1], v[4:5]
	v_mul_f64_e32 v[0:1], v[234:235], v[0:1]
	v_fma_f64 v[56:57], v[232:233], v[2:3], -v[0:1]
	ds_load_b128 v[0:3], v68 offset:1840
	s_wait_dscnt 0x0
	v_mul_f64_e32 v[4:5], v[238:239], v[2:3]
	s_delay_alu instid0(VALU_DEP_1) | instskip(SKIP_1) | instid1(VALU_DEP_1)
	;; [unrolled: 7-line block ×3, first 2 shown]
	v_fma_f64 v[69:70], v[240:241], v[0:1], v[4:5]
	v_mul_f64_e32 v[0:1], v[242:243], v[0:1]
	v_fma_f64 v[128:129], v[240:241], v[2:3], -v[0:1]
	v_add_f64_e64 v[0:1], v[12:13], -v[16:17]
	v_add_f64_e64 v[2:3], v[24:25], -v[20:21]
	s_delay_alu instid0(VALU_DEP_1) | instskip(SKIP_2) | instid1(VALU_DEP_1)
	v_add_f64_e32 v[4:5], v[0:1], v[2:3]
	v_add_f64_e64 v[0:1], v[14:15], -v[18:19]
	v_add_f64_e64 v[2:3], v[26:27], -v[22:23]
	v_add_f64_e32 v[6:7], v[0:1], v[2:3]
	v_add_f64_e32 v[0:1], v[16:17], v[20:21]
	s_delay_alu instid0(VALU_DEP_1) | instskip(SKIP_1) | instid1(VALU_DEP_1)
	v_fma_f64 v[75:76], v[0:1], -0.5, v[8:9]
	v_add_f64_e32 v[0:1], v[18:19], v[22:23]
	v_fma_f64 v[77:78], v[0:1], -0.5, v[10:11]
	s_delay_alu instid0(VALU_DEP_3) | instskip(SKIP_1) | instid1(VALU_DEP_3)
	v_fma_f64 v[0:1], v[91:92], s[18:19], v[75:76]
	v_fma_f64 v[75:76], v[91:92], s[16:17], v[75:76]
	;; [unrolled: 1-line block ×4, first 2 shown]
	s_delay_alu instid0(VALU_DEP_4) | instskip(NEXT) | instid1(VALU_DEP_4)
	v_fma_f64 v[0:1], v[93:94], s[14:15], v[0:1]
	v_fma_f64 v[75:76], v[93:94], s[12:13], v[75:76]
	s_delay_alu instid0(VALU_DEP_4) | instskip(NEXT) | instid1(VALU_DEP_4)
	v_fma_f64 v[2:3], v[97:98], s[12:13], v[2:3]
	v_fma_f64 v[77:78], v[97:98], s[14:15], v[77:78]
	;; [unrolled: 3-line block ×3, first 2 shown]
	v_add_f64_e32 v[75:76], v[12:13], v[24:25]
	v_fma_f64 v[2:3], v[6:7], s[2:3], v[2:3]
	v_fma_f64 v[6:7], v[6:7], s[2:3], v[77:78]
	v_add_f64_e32 v[77:78], v[14:15], v[26:27]
	s_delay_alu instid0(VALU_DEP_4) | instskip(SKIP_2) | instid1(VALU_DEP_4)
	v_fma_f64 v[75:76], v[75:76], -0.5, v[8:9]
	v_add_f64_e32 v[8:9], v[8:9], v[12:13]
	v_add_f64_e64 v[12:13], v[16:17], -v[12:13]
	v_fma_f64 v[77:78], v[77:78], -0.5, v[10:11]
	v_add_f64_e32 v[10:11], v[10:11], v[14:15]
	v_add_f64_e64 v[14:15], v[18:19], -v[14:15]
	v_add_f64_e32 v[8:9], v[8:9], v[16:17]
	v_add_f64_e64 v[16:17], v[20:21], -v[24:25]
	s_delay_alu instid0(VALU_DEP_4) | instskip(SKIP_1) | instid1(VALU_DEP_4)
	v_add_f64_e32 v[10:11], v[10:11], v[18:19]
	v_add_f64_e64 v[18:19], v[22:23], -v[26:27]
	v_add_f64_e32 v[8:9], v[8:9], v[20:21]
	v_fma_f64 v[20:21], v[93:94], s[16:17], v[75:76]
	v_add_f64_e32 v[12:13], v[12:13], v[16:17]
	v_add_f64_e32 v[10:11], v[10:11], v[22:23]
	v_fma_f64 v[22:23], v[93:94], s[18:19], v[75:76]
	v_add_f64_e32 v[8:9], v[8:9], v[24:25]
	v_fma_f64 v[24:25], v[97:98], s[18:19], v[77:78]
	;; [unrolled: 2-line block ×3, first 2 shown]
	v_add_f64_e64 v[75:76], v[30:31], -v[42:43]
	v_add_f64_e64 v[93:94], v[32:33], -v[36:37]
	v_add_f64_e32 v[10:11], v[10:11], v[26:27]
	v_fma_f64 v[26:27], v[97:98], s[16:17], v[77:78]
	v_fma_f64 v[18:19], v[91:92], s[12:13], v[22:23]
	;; [unrolled: 1-line block ×3, first 2 shown]
	v_add_f64_e64 v[91:92], v[28:29], -v[40:41]
	v_fma_f64 v[124:125], v[12:13], s[2:3], v[16:17]
	v_add_f64_e64 v[77:78], v[34:35], -v[38:39]
	v_add_f64_e64 v[97:98], v[60:61], -v[64:65]
	v_fma_f64 v[22:23], v[95:96], s[14:15], v[26:27]
	v_fma_f64 v[120:121], v[12:13], s[2:3], v[18:19]
	;; [unrolled: 1-line block ×3, first 2 shown]
	v_add_f64_e64 v[12:13], v[28:29], -v[32:33]
	v_add_f64_e64 v[95:96], v[32:33], -v[28:29]
	v_fma_f64 v[122:123], v[14:15], s[2:3], v[22:23]
	v_add_f64_e64 v[14:15], v[40:41], -v[36:37]
	ds_load_b128 v[20:23], v68 offset:80
	v_add_f64_e32 v[16:17], v[12:13], v[14:15]
	v_add_f64_e64 v[12:13], v[30:31], -v[34:35]
	v_add_f64_e64 v[14:15], v[42:43], -v[38:39]
	s_delay_alu instid0(VALU_DEP_1) | instskip(SKIP_2) | instid1(VALU_DEP_1)
	v_add_f64_e32 v[18:19], v[12:13], v[14:15]
	v_add_f64_e32 v[12:13], v[32:33], v[36:37]
	s_wait_dscnt 0x0
	v_fma_f64 v[24:25], v[12:13], -0.5, v[20:21]
	v_add_f64_e32 v[12:13], v[34:35], v[38:39]
	s_delay_alu instid0(VALU_DEP_1) | instskip(NEXT) | instid1(VALU_DEP_3)
	v_fma_f64 v[26:27], v[12:13], -0.5, v[22:23]
	v_fma_f64 v[12:13], v[75:76], s[18:19], v[24:25]
	v_fma_f64 v[24:25], v[75:76], s[16:17], v[24:25]
	s_delay_alu instid0(VALU_DEP_3) | instskip(SKIP_1) | instid1(VALU_DEP_4)
	v_fma_f64 v[14:15], v[91:92], s[16:17], v[26:27]
	v_fma_f64 v[26:27], v[91:92], s[18:19], v[26:27]
	;; [unrolled: 1-line block ×3, first 2 shown]
	s_delay_alu instid0(VALU_DEP_4) | instskip(NEXT) | instid1(VALU_DEP_4)
	v_fma_f64 v[24:25], v[77:78], s[12:13], v[24:25]
	v_fma_f64 v[14:15], v[93:94], s[12:13], v[14:15]
	s_delay_alu instid0(VALU_DEP_4) | instskip(NEXT) | instid1(VALU_DEP_4)
	v_fma_f64 v[26:27], v[93:94], s[14:15], v[26:27]
	v_fma_f64 v[12:13], v[16:17], s[2:3], v[12:13]
	s_delay_alu instid0(VALU_DEP_4) | instskip(SKIP_4) | instid1(VALU_DEP_4)
	v_fma_f64 v[16:17], v[16:17], s[2:3], v[24:25]
	v_add_f64_e32 v[24:25], v[28:29], v[40:41]
	v_fma_f64 v[14:15], v[18:19], s[2:3], v[14:15]
	v_fma_f64 v[18:19], v[18:19], s[2:3], v[26:27]
	v_add_f64_e32 v[26:27], v[30:31], v[42:43]
	v_fma_f64 v[24:25], v[24:25], -0.5, v[20:21]
	v_add_f64_e32 v[20:21], v[20:21], v[28:29]
	s_delay_alu instid0(VALU_DEP_3) | instskip(SKIP_1) | instid1(VALU_DEP_3)
	v_fma_f64 v[26:27], v[26:27], -0.5, v[22:23]
	v_add_f64_e32 v[22:23], v[22:23], v[30:31]
	v_add_f64_e32 v[20:21], v[20:21], v[32:33]
	v_add_f64_e64 v[32:33], v[34:35], -v[30:31]
	s_delay_alu instid0(VALU_DEP_3) | instskip(SKIP_1) | instid1(VALU_DEP_4)
	v_add_f64_e32 v[22:23], v[22:23], v[34:35]
	v_add_f64_e64 v[34:35], v[36:37], -v[40:41]
	v_add_f64_e32 v[20:21], v[20:21], v[36:37]
	v_fma_f64 v[36:37], v[93:94], s[18:19], v[26:27]
	v_fma_f64 v[26:27], v[93:94], s[16:17], v[26:27]
	v_add_f64_e64 v[93:94], v[62:63], -v[66:67]
	v_add_f64_e32 v[22:23], v[22:23], v[38:39]
	v_add_f64_e32 v[34:35], v[95:96], v[34:35]
	v_add_f64_e32 v[28:29], v[20:21], v[40:41]
	v_add_f64_e64 v[20:21], v[38:39], -v[42:43]
	v_fma_f64 v[36:37], v[91:92], s[12:13], v[36:37]
	v_fma_f64 v[38:39], v[91:92], s[14:15], v[26:27]
	v_add_f64_e64 v[91:92], v[46:47], -v[73:74]
	v_add_f64_e64 v[95:96], v[44:45], -v[71:72]
	v_add_f64_e32 v[30:31], v[22:23], v[42:43]
	v_fma_f64 v[22:23], v[77:78], s[16:17], v[24:25]
	v_fma_f64 v[24:25], v[77:78], s[18:19], v[24:25]
	v_add_f64_e32 v[32:33], v[32:33], v[20:21]
	ds_load_b128 v[40:43], v68 offset:160
	v_fma_f64 v[20:21], v[75:76], s[14:15], v[22:23]
	v_fma_f64 v[22:23], v[75:76], s[12:13], v[24:25]
	;; [unrolled: 1-line block ×3, first 2 shown]
	v_add_f64_e64 v[36:37], v[73:74], -v[66:67]
	s_delay_alu instid0(VALU_DEP_4) | instskip(NEXT) | instid1(VALU_DEP_4)
	v_fma_f64 v[24:25], v[34:35], s[2:3], v[20:21]
	v_fma_f64 v[20:21], v[34:35], s[2:3], v[22:23]
	;; [unrolled: 1-line block ×3, first 2 shown]
	v_add_f64_e64 v[32:33], v[44:45], -v[60:61]
	v_add_f64_e64 v[34:35], v[71:72], -v[64:65]
	s_delay_alu instid0(VALU_DEP_1) | instskip(SKIP_1) | instid1(VALU_DEP_1)
	v_add_f64_e32 v[32:33], v[32:33], v[34:35]
	v_add_f64_e64 v[34:35], v[46:47], -v[62:63]
	v_add_f64_e32 v[34:35], v[34:35], v[36:37]
	v_add_f64_e32 v[36:37], v[60:61], v[64:65]
	s_wait_dscnt 0x0
	s_delay_alu instid0(VALU_DEP_1) | instskip(SKIP_1) | instid1(VALU_DEP_1)
	v_fma_f64 v[75:76], v[36:37], -0.5, v[40:41]
	v_add_f64_e32 v[36:37], v[62:63], v[66:67]
	v_fma_f64 v[77:78], v[36:37], -0.5, v[42:43]
	s_delay_alu instid0(VALU_DEP_3) | instskip(SKIP_1) | instid1(VALU_DEP_3)
	v_fma_f64 v[36:37], v[91:92], s[18:19], v[75:76]
	v_fma_f64 v[75:76], v[91:92], s[16:17], v[75:76]
	;; [unrolled: 1-line block ×4, first 2 shown]
	s_delay_alu instid0(VALU_DEP_4) | instskip(NEXT) | instid1(VALU_DEP_4)
	v_fma_f64 v[36:37], v[93:94], s[14:15], v[36:37]
	v_fma_f64 v[75:76], v[93:94], s[12:13], v[75:76]
	s_delay_alu instid0(VALU_DEP_4) | instskip(NEXT) | instid1(VALU_DEP_4)
	v_fma_f64 v[38:39], v[97:98], s[12:13], v[38:39]
	v_fma_f64 v[77:78], v[97:98], s[14:15], v[77:78]
	;; [unrolled: 3-line block ×3, first 2 shown]
	v_add_f64_e32 v[75:76], v[44:45], v[71:72]
	v_fma_f64 v[38:39], v[34:35], s[2:3], v[38:39]
	v_fma_f64 v[34:35], v[34:35], s[2:3], v[77:78]
	v_add_f64_e32 v[77:78], v[46:47], v[73:74]
	s_delay_alu instid0(VALU_DEP_4) | instskip(SKIP_2) | instid1(VALU_DEP_4)
	v_fma_f64 v[75:76], v[75:76], -0.5, v[40:41]
	v_add_f64_e32 v[40:41], v[40:41], v[44:45]
	v_add_f64_e64 v[44:45], v[60:61], -v[44:45]
	v_fma_f64 v[77:78], v[77:78], -0.5, v[42:43]
	v_add_f64_e32 v[42:43], v[42:43], v[46:47]
	v_add_f64_e64 v[46:47], v[62:63], -v[46:47]
	v_add_f64_e32 v[40:41], v[40:41], v[60:61]
	s_delay_alu instid0(VALU_DEP_3) | instskip(NEXT) | instid1(VALU_DEP_2)
	v_add_f64_e32 v[42:43], v[42:43], v[62:63]
	v_add_f64_e32 v[40:41], v[40:41], v[64:65]
	v_add_f64_e64 v[64:65], v[64:65], -v[71:72]
	s_delay_alu instid0(VALU_DEP_3) | instskip(NEXT) | instid1(VALU_DEP_3)
	v_add_f64_e32 v[42:43], v[42:43], v[66:67]
	v_add_f64_e32 v[60:61], v[40:41], v[71:72]
	v_add_f64_e64 v[40:41], v[66:67], -v[73:74]
	v_fma_f64 v[66:67], v[93:94], s[18:19], v[75:76]
	v_fma_f64 v[71:72], v[97:98], s[18:19], v[77:78]
	v_add_f64_e32 v[64:65], v[44:45], v[64:65]
	v_add_f64_e32 v[62:63], v[42:43], v[73:74]
	v_fma_f64 v[42:43], v[93:94], s[16:17], v[75:76]
	v_fma_f64 v[73:74], v[97:98], s[16:17], v[77:78]
	v_add_f64_e32 v[75:76], v[46:47], v[40:41]
	v_add_f64_e64 v[97:98], v[81:82], -v[85:86]
	v_fma_f64 v[46:47], v[95:96], s[12:13], v[71:72]
	v_add_f64_e32 v[71:72], v[79:80], v[83:84]
	v_fma_f64 v[40:41], v[91:92], s[14:15], v[42:43]
	v_fma_f64 v[42:43], v[91:92], s[12:13], v[66:67]
	;; [unrolled: 1-line block ×3, first 2 shown]
	v_add_f64_e64 v[95:96], v[146:147], -v[89:90]
	v_fma_f64 v[46:47], v[75:76], s[2:3], v[46:47]
	v_fma_f64 v[44:45], v[64:65], s[2:3], v[40:41]
	;; [unrolled: 1-line block ×4, first 2 shown]
	v_add_f64_e64 v[64:65], v[148:149], -v[79:80]
	v_add_f64_e64 v[66:67], v[87:88], -v[83:84]
	s_delay_alu instid0(VALU_DEP_1) | instskip(SKIP_2) | instid1(VALU_DEP_1)
	v_add_f64_e32 v[75:76], v[64:65], v[66:67]
	v_add_f64_e64 v[64:65], v[146:147], -v[81:82]
	v_add_f64_e64 v[66:67], v[89:90], -v[85:86]
	v_add_f64_e32 v[77:78], v[64:65], v[66:67]
	ds_load_b128 v[64:67], v68 offset:240
	s_wait_dscnt 0x0
	v_fma_f64 v[91:92], v[71:72], -0.5, v[64:65]
	v_add_f64_e32 v[71:72], v[81:82], v[85:86]
	s_delay_alu instid0(VALU_DEP_1) | instskip(NEXT) | instid1(VALU_DEP_3)
	v_fma_f64 v[93:94], v[71:72], -0.5, v[66:67]
	v_fma_f64 v[71:72], v[95:96], s[18:19], v[91:92]
	v_fma_f64 v[91:92], v[95:96], s[16:17], v[91:92]
	s_delay_alu instid0(VALU_DEP_3) | instskip(SKIP_1) | instid1(VALU_DEP_4)
	v_fma_f64 v[73:74], v[99:100], s[16:17], v[93:94]
	v_fma_f64 v[93:94], v[99:100], s[18:19], v[93:94]
	;; [unrolled: 1-line block ×3, first 2 shown]
	s_delay_alu instid0(VALU_DEP_4) | instskip(NEXT) | instid1(VALU_DEP_4)
	v_fma_f64 v[91:92], v[97:98], s[12:13], v[91:92]
	v_fma_f64 v[73:74], v[101:102], s[12:13], v[73:74]
	s_delay_alu instid0(VALU_DEP_4) | instskip(NEXT) | instid1(VALU_DEP_4)
	v_fma_f64 v[93:94], v[101:102], s[14:15], v[93:94]
	v_fma_f64 v[71:72], v[75:76], s[2:3], v[71:72]
	s_delay_alu instid0(VALU_DEP_4) | instskip(SKIP_4) | instid1(VALU_DEP_4)
	v_fma_f64 v[75:76], v[75:76], s[2:3], v[91:92]
	v_add_f64_e32 v[91:92], v[148:149], v[87:88]
	v_fma_f64 v[73:74], v[77:78], s[2:3], v[73:74]
	v_fma_f64 v[77:78], v[77:78], s[2:3], v[93:94]
	v_add_f64_e32 v[93:94], v[146:147], v[89:90]
	v_fma_f64 v[91:92], v[91:92], -0.5, v[64:65]
	v_add_f64_e32 v[64:65], v[64:65], v[148:149]
	s_delay_alu instid0(VALU_DEP_3) | instskip(SKIP_1) | instid1(VALU_DEP_3)
	v_fma_f64 v[93:94], v[93:94], -0.5, v[66:67]
	v_add_f64_e32 v[66:67], v[66:67], v[146:147]
	v_add_f64_e32 v[64:65], v[64:65], v[79:80]
	v_add_f64_e64 v[79:80], v[81:82], -v[146:147]
	s_delay_alu instid0(VALU_DEP_3) | instskip(SKIP_1) | instid1(VALU_DEP_4)
	v_add_f64_e32 v[66:67], v[66:67], v[81:82]
	v_add_f64_e64 v[81:82], v[83:84], -v[87:88]
	v_add_f64_e32 v[64:65], v[64:65], v[83:84]
	v_add_f64_e64 v[83:84], v[85:86], -v[89:90]
	s_delay_alu instid0(VALU_DEP_4) | instskip(SKIP_1) | instid1(VALU_DEP_4)
	v_add_f64_e32 v[66:67], v[66:67], v[85:86]
	v_fma_f64 v[85:86], v[97:98], s[16:17], v[91:92]
	v_add_f64_e32 v[64:65], v[64:65], v[87:88]
	v_fma_f64 v[87:88], v[97:98], s[18:19], v[91:92]
	v_fma_f64 v[91:92], v[101:102], s[16:17], v[93:94]
	v_add_f64_e32 v[97:98], v[79:80], v[83:84]
	v_add_f64_e32 v[66:67], v[66:67], v[89:90]
	v_fma_f64 v[89:90], v[101:102], s[18:19], v[93:94]
	v_add_f64_e32 v[93:94], v[103:104], v[81:82]
	v_fma_f64 v[83:84], v[95:96], s[12:13], v[87:88]
	v_add_f64_e64 v[87:88], v[134:135], -v[132:133]
	v_fma_f64 v[79:80], v[95:96], s[14:15], v[85:86]
	v_fma_f64 v[85:86], v[99:100], s[14:15], v[91:92]
	v_add_f64_e32 v[91:92], v[132:133], v[142:143]
	v_add_f64_e64 v[103:104], v[136:137], -v[138:139]
	v_fma_f64 v[81:82], v[99:100], s[12:13], v[89:90]
	v_add_f64_e64 v[89:90], v[140:141], -v[142:143]
	v_fma_f64 v[83:84], v[93:94], s[2:3], v[83:84]
	v_fma_f64 v[79:80], v[93:94], s[2:3], v[79:80]
	;; [unrolled: 1-line block ×4, first 2 shown]
	v_add_f64_e32 v[95:96], v[87:88], v[89:90]
	v_add_f64_e64 v[87:88], v[136:137], -v[130:131]
	v_add_f64_e64 v[89:90], v[138:139], -v[144:145]
	s_delay_alu instid0(VALU_DEP_1) | instskip(SKIP_4) | instid1(VALU_DEP_1)
	v_add_f64_e32 v[97:98], v[87:88], v[89:90]
	ds_load_b128 v[87:90], v68 offset:320
	s_wait_dscnt 0x0
	v_fma_f64 v[99:100], v[91:92], -0.5, v[87:88]
	v_add_f64_e32 v[91:92], v[130:131], v[144:145]
	v_fma_f64 v[101:102], v[91:92], -0.5, v[89:90]
	s_delay_alu instid0(VALU_DEP_3) | instskip(SKIP_1) | instid1(VALU_DEP_3)
	v_fma_f64 v[91:92], v[103:104], s[16:17], v[99:100]
	v_fma_f64 v[99:100], v[103:104], s[18:19], v[99:100]
	;; [unrolled: 1-line block ×4, first 2 shown]
	s_delay_alu instid0(VALU_DEP_4) | instskip(NEXT) | instid1(VALU_DEP_4)
	v_fma_f64 v[91:92], v[105:106], s[14:15], v[91:92]
	v_fma_f64 v[99:100], v[105:106], s[12:13], v[99:100]
	s_delay_alu instid0(VALU_DEP_4) | instskip(NEXT) | instid1(VALU_DEP_4)
	v_fma_f64 v[93:94], v[109:110], s[12:13], v[93:94]
	v_fma_f64 v[101:102], v[109:110], s[14:15], v[101:102]
	;; [unrolled: 3-line block ×3, first 2 shown]
	v_add_f64_e32 v[99:100], v[134:135], v[140:141]
	v_fma_f64 v[93:94], v[97:98], s[2:3], v[93:94]
	v_fma_f64 v[97:98], v[97:98], s[2:3], v[101:102]
	v_add_f64_e32 v[101:102], v[136:137], v[138:139]
	s_delay_alu instid0(VALU_DEP_4) | instskip(SKIP_1) | instid1(VALU_DEP_3)
	v_fma_f64 v[99:100], v[99:100], -0.5, v[87:88]
	v_add_f64_e32 v[87:88], v[87:88], v[132:133]
	v_fma_f64 v[101:102], v[101:102], -0.5, v[89:90]
	v_add_f64_e32 v[89:90], v[89:90], v[130:131]
	s_delay_alu instid0(VALU_DEP_4) | instskip(NEXT) | instid1(VALU_DEP_4)
	v_fma_f64 v[130:131], v[105:106], s[18:19], v[99:100]
	v_add_f64_e32 v[87:88], v[87:88], v[134:135]
	v_fma_f64 v[99:100], v[105:106], s[16:17], v[99:100]
	v_fma_f64 v[105:106], v[109:110], s[16:17], v[101:102]
	v_add_f64_e32 v[89:90], v[89:90], v[136:137]
	v_fma_f64 v[101:102], v[109:110], s[18:19], v[101:102]
	v_add_f64_e32 v[87:88], v[87:88], v[140:141]
	v_add_f64_e32 v[109:110], v[111:112], v[115:116]
	;; [unrolled: 1-line block ×3, first 2 shown]
	v_fma_f64 v[113:114], v[103:104], s[14:15], v[130:131]
	v_fma_f64 v[103:104], v[103:104], s[12:13], v[99:100]
	;; [unrolled: 1-line block ×3, first 2 shown]
	v_add_f64_e32 v[89:90], v[89:90], v[138:139]
	v_fma_f64 v[107:108], v[107:108], s[14:15], v[101:102]
	v_add_f64_e32 v[87:88], v[87:88], v[142:143]
	v_fma_f64 v[99:100], v[109:110], s[2:3], v[113:114]
	v_fma_f64 v[103:104], v[109:110], s[2:3], v[103:104]
	;; [unrolled: 1-line block ×3, first 2 shown]
	v_add_f64_e32 v[89:90], v[89:90], v[144:145]
	v_fma_f64 v[105:106], v[111:112], s[2:3], v[107:108]
	ds_load_b128 v[107:110], v68 offset:400
	global_wb scope:SCOPE_SE
	s_wait_dscnt 0x0
	s_barrier_signal -1
	s_barrier_wait -1
	global_inv scope:SCOPE_SE
	ds_store_b128 v68, v[8:11]
	ds_store_b128 v68, v[28:31] offset:80
	ds_store_b128 v68, v[60:63] offset:800
	;; [unrolled: 1-line block ×24, first 2 shown]
	v_add_f64_e64 v[0:1], v[54:55], -v[50:51]
	v_add_f64_e64 v[2:3], v[58:59], -v[69:70]
	;; [unrolled: 1-line block ×10, first 2 shown]
	v_add_f64_e32 v[4:5], v[0:1], v[2:3]
	v_add_f64_e64 v[0:1], v[56:57], -v[48:49]
	v_add_f64_e64 v[2:3], v[52:53], -v[128:129]
	s_delay_alu instid0(VALU_DEP_1) | instskip(SKIP_1) | instid1(VALU_DEP_1)
	v_add_f64_e32 v[6:7], v[0:1], v[2:3]
	v_add_f64_e32 v[0:1], v[50:51], v[69:70]
	v_fma_f64 v[8:9], v[0:1], -0.5, v[107:108]
	v_add_f64_e32 v[0:1], v[48:49], v[128:129]
	s_delay_alu instid0(VALU_DEP_1) | instskip(NEXT) | instid1(VALU_DEP_3)
	v_fma_f64 v[10:11], v[0:1], -0.5, v[109:110]
	v_fma_f64 v[0:1], v[12:13], s[16:17], v[8:9]
	v_fma_f64 v[8:9], v[12:13], s[18:19], v[8:9]
	s_delay_alu instid0(VALU_DEP_3) | instskip(NEXT) | instid1(VALU_DEP_3)
	v_fma_f64 v[2:3], v[16:17], s[18:19], v[10:11]
	v_fma_f64 v[0:1], v[14:15], s[14:15], v[0:1]
	s_delay_alu instid0(VALU_DEP_3) | instskip(SKIP_1) | instid1(VALU_DEP_4)
	v_fma_f64 v[8:9], v[14:15], s[12:13], v[8:9]
	v_fma_f64 v[10:11], v[16:17], s[16:17], v[10:11]
	;; [unrolled: 1-line block ×3, first 2 shown]
	s_delay_alu instid0(VALU_DEP_4) | instskip(NEXT) | instid1(VALU_DEP_4)
	v_fma_f64 v[0:1], v[4:5], s[2:3], v[0:1]
	v_fma_f64 v[4:5], v[4:5], s[2:3], v[8:9]
	v_add_f64_e32 v[8:9], v[54:55], v[58:59]
	v_fma_f64 v[10:11], v[18:19], s[14:15], v[10:11]
	v_fma_f64 v[2:3], v[6:7], s[2:3], v[2:3]
	s_delay_alu instid0(VALU_DEP_3) | instskip(SKIP_1) | instid1(VALU_DEP_4)
	v_fma_f64 v[20:21], v[8:9], -0.5, v[107:108]
	v_add_f64_e32 v[8:9], v[56:57], v[52:53]
	v_fma_f64 v[6:7], v[6:7], s[2:3], v[10:11]
	v_add_f64_e32 v[10:11], v[109:110], v[48:49]
	s_delay_alu instid0(VALU_DEP_4) | instskip(NEXT) | instid1(VALU_DEP_4)
	v_fma_f64 v[32:33], v[14:15], s[18:19], v[20:21]
	v_fma_f64 v[22:23], v[8:9], -0.5, v[109:110]
	v_add_f64_e32 v[8:9], v[107:108], v[50:51]
	s_delay_alu instid0(VALU_DEP_4) | instskip(SKIP_1) | instid1(VALU_DEP_4)
	v_add_f64_e32 v[10:11], v[10:11], v[56:57]
	v_fma_f64 v[14:15], v[14:15], s[16:17], v[20:21]
	v_fma_f64 v[20:21], v[18:19], s[16:17], v[22:23]
	s_delay_alu instid0(VALU_DEP_4)
	v_add_f64_e32 v[8:9], v[8:9], v[54:55]
	v_fma_f64 v[18:19], v[18:19], s[18:19], v[22:23]
	v_add_f64_e32 v[10:11], v[10:11], v[52:53]
	v_add_f64_e32 v[22:23], v[24:25], v[28:29]
	;; [unrolled: 1-line block ×3, first 2 shown]
	v_fma_f64 v[26:27], v[12:13], s[14:15], v[32:33]
	v_fma_f64 v[28:29], v[12:13], s[12:13], v[14:15]
	v_fma_f64 v[14:15], v[16:17], s[12:13], v[20:21]
	v_add_f64_e32 v[8:9], v[8:9], v[58:59]
	v_fma_f64 v[18:19], v[16:17], s[14:15], v[18:19]
	v_add_f64_e32 v[10:11], v[10:11], v[128:129]
	v_fma_f64 v[12:13], v[22:23], s[2:3], v[26:27]
	v_fma_f64 v[16:17], v[22:23], s[2:3], v[28:29]
	;; [unrolled: 1-line block ×3, first 2 shown]
	v_add_f64_e32 v[8:9], v[8:9], v[69:70]
	v_fma_f64 v[18:19], v[24:25], s[2:3], v[18:19]
	ds_store_b128 v198, v[8:11] offset:1600
	ds_store_b128 v198, v[12:15] offset:1760
	;; [unrolled: 1-line block ×5, first 2 shown]
	global_wb scope:SCOPE_SE
	s_wait_dscnt 0x0
	s_barrier_signal -1
	s_barrier_wait -1
	global_inv scope:SCOPE_SE
	s_clause 0x2
	scratch_load_b128 v[6:9], off, off offset:612 th:TH_LOAD_LU
	scratch_load_b128 v[18:21], off, off offset:580 th:TH_LOAD_LU
	;; [unrolled: 1-line block ×3, first 2 shown]
	ds_load_b128 v[0:3], v68 offset:800
	s_mov_b32 s2, 0xb4e81b4f
	s_mov_b32 s3, 0x3f7b4e81
	s_wait_loadcnt_dscnt 0x200
	v_mul_f64_e32 v[4:5], v[8:9], v[2:3]
	s_delay_alu instid0(VALU_DEP_1) | instskip(SKIP_1) | instid1(VALU_DEP_1)
	v_fma_f64 v[4:5], v[6:7], v[0:1], v[4:5]
	v_mul_f64_e32 v[0:1], v[8:9], v[0:1]
	v_fma_f64 v[6:7], v[6:7], v[2:3], -v[0:1]
	ds_load_b128 v[0:3], v68 offset:1600
	s_wait_dscnt 0x0
	v_mul_f64_e32 v[8:9], v[186:187], v[2:3]
	s_delay_alu instid0(VALU_DEP_1) | instskip(SKIP_1) | instid1(VALU_DEP_1)
	v_fma_f64 v[8:9], v[184:185], v[0:1], v[8:9]
	v_mul_f64_e32 v[0:1], v[186:187], v[0:1]
	v_fma_f64 v[10:11], v[184:185], v[2:3], -v[0:1]
	ds_load_b128 v[0:3], v68 offset:880
	s_wait_loadcnt_dscnt 0x100
	v_mul_f64_e32 v[12:13], v[20:21], v[2:3]
	v_add_f64_e32 v[14:15], v[6:7], v[10:11]
	s_delay_alu instid0(VALU_DEP_2) | instskip(SKIP_1) | instid1(VALU_DEP_1)
	v_fma_f64 v[16:17], v[18:19], v[0:1], v[12:13]
	v_mul_f64_e32 v[0:1], v[20:21], v[0:1]
	v_fma_f64 v[18:19], v[18:19], v[2:3], -v[0:1]
	ds_load_b128 v[0:3], v68 offset:1680
	s_wait_loadcnt_dscnt 0x0
	v_mul_f64_e32 v[12:13], v[24:25], v[2:3]
	s_delay_alu instid0(VALU_DEP_1)
	v_fma_f64 v[20:21], v[22:23], v[0:1], v[12:13]
	v_mul_f64_e32 v[0:1], v[24:25], v[0:1]
	scratch_load_b128 v[24:27], off, off offset:596 th:TH_LOAD_LU ; 16-byte Folded Reload
	v_fma_f64 v[22:23], v[22:23], v[2:3], -v[0:1]
	ds_load_b128 v[0:3], v68 offset:960
	s_wait_loadcnt_dscnt 0x0
	v_mul_f64_e32 v[12:13], v[26:27], v[2:3]
	s_delay_alu instid0(VALU_DEP_1) | instskip(SKIP_2) | instid1(VALU_DEP_2)
	v_fma_f64 v[28:29], v[24:25], v[0:1], v[12:13]
	v_mul_f64_e32 v[0:1], v[26:27], v[0:1]
	v_add_f64_e32 v[26:27], v[18:19], v[22:23]
	v_fma_f64 v[30:31], v[24:25], v[2:3], -v[0:1]
	ds_load_b128 v[0:3], v68 offset:1760
	v_add_f64_e32 v[24:25], v[16:17], v[20:21]
	s_wait_dscnt 0x0
	v_mul_f64_e32 v[12:13], v[190:191], v[2:3]
	s_delay_alu instid0(VALU_DEP_1) | instskip(SKIP_1) | instid1(VALU_DEP_2)
	v_fma_f64 v[32:33], v[188:189], v[0:1], v[12:13]
	v_mul_f64_e32 v[0:1], v[190:191], v[0:1]
	v_add_f64_e32 v[36:37], v[28:29], v[32:33]
	s_delay_alu instid0(VALU_DEP_2) | instskip(SKIP_4) | instid1(VALU_DEP_2)
	v_fma_f64 v[34:35], v[188:189], v[2:3], -v[0:1]
	ds_load_b128 v[0:3], v68 offset:1040
	s_wait_dscnt 0x0
	v_mul_f64_e32 v[12:13], v[194:195], v[2:3]
	v_add_f64_e32 v[38:39], v[30:31], v[34:35]
	v_fma_f64 v[40:41], v[192:193], v[0:1], v[12:13]
	v_mul_f64_e32 v[0:1], v[194:195], v[0:1]
	s_delay_alu instid0(VALU_DEP_1) | instskip(SKIP_3) | instid1(VALU_DEP_1)
	v_fma_f64 v[42:43], v[192:193], v[2:3], -v[0:1]
	ds_load_b128 v[0:3], v68 offset:1840
	s_wait_dscnt 0x0
	v_mul_f64_e32 v[12:13], v[182:183], v[2:3]
	v_fma_f64 v[44:45], v[180:181], v[0:1], v[12:13]
	v_mul_f64_e32 v[0:1], v[182:183], v[0:1]
	s_delay_alu instid0(VALU_DEP_2) | instskip(NEXT) | instid1(VALU_DEP_2)
	v_add_f64_e32 v[48:49], v[40:41], v[44:45]
	v_fma_f64 v[46:47], v[180:181], v[2:3], -v[0:1]
	ds_load_b128 v[0:3], v68 offset:1120
	s_wait_dscnt 0x0
	v_mul_f64_e32 v[12:13], v[178:179], v[2:3]
	v_add_f64_e32 v[50:51], v[42:43], v[46:47]
	s_delay_alu instid0(VALU_DEP_2) | instskip(SKIP_1) | instid1(VALU_DEP_1)
	v_fma_f64 v[52:53], v[176:177], v[0:1], v[12:13]
	v_mul_f64_e32 v[0:1], v[178:179], v[0:1]
	v_fma_f64 v[54:55], v[176:177], v[2:3], -v[0:1]
	ds_load_b128 v[0:3], v68 offset:1920
	s_wait_dscnt 0x0
	v_mul_f64_e32 v[12:13], v[210:211], v[2:3]
	s_delay_alu instid0(VALU_DEP_1) | instskip(SKIP_1) | instid1(VALU_DEP_2)
	v_fma_f64 v[56:57], v[208:209], v[0:1], v[12:13]
	v_mul_f64_e32 v[0:1], v[210:211], v[0:1]
	v_add_f64_e32 v[60:61], v[52:53], v[56:57]
	s_delay_alu instid0(VALU_DEP_2) | instskip(SKIP_4) | instid1(VALU_DEP_2)
	v_fma_f64 v[58:59], v[208:209], v[2:3], -v[0:1]
	ds_load_b128 v[0:3], v68 offset:1200
	s_wait_dscnt 0x0
	v_mul_f64_e32 v[12:13], v[218:219], v[2:3]
	v_add_f64_e32 v[62:63], v[54:55], v[58:59]
	v_fma_f64 v[64:65], v[216:217], v[0:1], v[12:13]
	v_mul_f64_e32 v[0:1], v[218:219], v[0:1]
	s_delay_alu instid0(VALU_DEP_1) | instskip(SKIP_3) | instid1(VALU_DEP_1)
	v_fma_f64 v[66:67], v[216:217], v[2:3], -v[0:1]
	ds_load_b128 v[0:3], v68 offset:2000
	s_wait_dscnt 0x0
	v_mul_f64_e32 v[12:13], v[226:227], v[2:3]
	v_fma_f64 v[69:70], v[224:225], v[0:1], v[12:13]
	v_mul_f64_e32 v[0:1], v[226:227], v[0:1]
	s_delay_alu instid0(VALU_DEP_2) | instskip(NEXT) | instid1(VALU_DEP_2)
	v_add_f64_e32 v[73:74], v[64:65], v[69:70]
	v_fma_f64 v[71:72], v[224:225], v[2:3], -v[0:1]
	ds_load_b128 v[0:3], v68 offset:1280
	s_wait_dscnt 0x0
	v_mul_f64_e32 v[12:13], v[230:231], v[2:3]
	v_add_f64_e32 v[75:76], v[66:67], v[71:72]
	s_delay_alu instid0(VALU_DEP_2) | instskip(SKIP_1) | instid1(VALU_DEP_1)
	v_fma_f64 v[77:78], v[228:229], v[0:1], v[12:13]
	v_mul_f64_e32 v[0:1], v[230:231], v[0:1]
	v_fma_f64 v[79:80], v[228:229], v[2:3], -v[0:1]
	ds_load_b128 v[0:3], v68 offset:2080
	;; [unrolled: 33-line block ×3, first 2 shown]
	s_wait_dscnt 0x0
	v_mul_f64_e32 v[12:13], v[254:255], v[2:3]
	s_delay_alu instid0(VALU_DEP_1) | instskip(SKIP_1) | instid1(VALU_DEP_2)
	v_fma_f64 v[105:106], v[252:253], v[0:1], v[12:13]
	v_mul_f64_e32 v[0:1], v[254:255], v[0:1]
	v_add_f64_e32 v[109:110], v[101:102], v[105:106]
	s_delay_alu instid0(VALU_DEP_2) | instskip(SKIP_4) | instid1(VALU_DEP_2)
	v_fma_f64 v[107:108], v[252:253], v[2:3], -v[0:1]
	ds_load_b128 v[0:3], v68 offset:1520
	s_wait_dscnt 0x0
	v_mul_f64_e32 v[12:13], v[222:223], v[2:3]
	v_add_f64_e32 v[111:112], v[103:104], v[107:108]
	v_fma_f64 v[113:114], v[220:221], v[0:1], v[12:13]
	v_mul_f64_e32 v[0:1], v[222:223], v[0:1]
	s_delay_alu instid0(VALU_DEP_1) | instskip(SKIP_3) | instid1(VALU_DEP_1)
	v_fma_f64 v[115:116], v[220:221], v[2:3], -v[0:1]
	ds_load_b128 v[0:3], v68 offset:2320
	s_wait_dscnt 0x0
	v_mul_f64_e32 v[12:13], v[214:215], v[2:3]
	v_fma_f64 v[117:118], v[212:213], v[0:1], v[12:13]
	v_mul_f64_e32 v[0:1], v[214:215], v[0:1]
	v_add_f64_e32 v[12:13], v[4:5], v[8:9]
	s_delay_alu instid0(VALU_DEP_3) | instskip(NEXT) | instid1(VALU_DEP_3)
	v_add_f64_e32 v[121:122], v[113:114], v[117:118]
	v_fma_f64 v[119:120], v[212:213], v[2:3], -v[0:1]
	ds_load_b128 v[0:3], v68
	s_wait_dscnt 0x0
	v_fma_f64 v[14:15], v[14:15], -0.5, v[2:3]
	v_add_f64_e32 v[2:3], v[2:3], v[6:7]
	v_fma_f64 v[12:13], v[12:13], -0.5, v[0:1]
	v_add_f64_e32 v[0:1], v[0:1], v[4:5]
	v_add_f64_e64 v[6:7], v[6:7], -v[10:11]
	v_add_f64_e32 v[123:124], v[115:116], v[119:120]
	v_add_f64_e64 v[125:126], v[115:116], -v[119:120]
	;; [unrolled: 2-line block ×3, first 2 shown]
	v_add_f64_e32 v[0:1], v[0:1], v[8:9]
	v_fma_f64 v[4:5], v[6:7], s[10:11], v[12:13]
	v_fma_f64 v[8:9], v[6:7], s[20:21], v[12:13]
	s_delay_alu instid0(VALU_DEP_4)
	v_fma_f64 v[6:7], v[10:11], s[20:21], v[14:15]
	v_fma_f64 v[10:11], v[10:11], s[10:11], v[14:15]
	ds_load_b128 v[12:15], v68 offset:80
	s_wait_dscnt 0x0
	v_fma_f64 v[26:27], v[26:27], -0.5, v[14:15]
	v_add_f64_e32 v[14:15], v[14:15], v[18:19]
	v_fma_f64 v[24:25], v[24:25], -0.5, v[12:13]
	v_add_f64_e32 v[12:13], v[12:13], v[16:17]
	v_add_f64_e64 v[18:19], v[18:19], -v[22:23]
	s_delay_alu instid0(VALU_DEP_4) | instskip(SKIP_1) | instid1(VALU_DEP_4)
	v_add_f64_e32 v[14:15], v[14:15], v[22:23]
	v_add_f64_e64 v[22:23], v[16:17], -v[20:21]
	v_add_f64_e32 v[12:13], v[12:13], v[20:21]
	s_delay_alu instid0(VALU_DEP_4) | instskip(SKIP_1) | instid1(VALU_DEP_4)
	v_fma_f64 v[16:17], v[18:19], s[10:11], v[24:25]
	v_fma_f64 v[20:21], v[18:19], s[20:21], v[24:25]
	v_fma_f64 v[18:19], v[22:23], s[20:21], v[26:27]
	v_fma_f64 v[22:23], v[22:23], s[10:11], v[26:27]
	ds_load_b128 v[24:27], v68 offset:160
	s_wait_dscnt 0x0
	v_fma_f64 v[38:39], v[38:39], -0.5, v[26:27]
	v_add_f64_e32 v[26:27], v[26:27], v[30:31]
	v_fma_f64 v[36:37], v[36:37], -0.5, v[24:25]
	v_add_f64_e32 v[24:25], v[24:25], v[28:29]
	v_add_f64_e64 v[30:31], v[30:31], -v[34:35]
	s_delay_alu instid0(VALU_DEP_4) | instskip(SKIP_1) | instid1(VALU_DEP_4)
	v_add_f64_e32 v[26:27], v[26:27], v[34:35]
	v_add_f64_e64 v[34:35], v[28:29], -v[32:33]
	v_add_f64_e32 v[24:25], v[24:25], v[32:33]
	s_delay_alu instid0(VALU_DEP_4) | instskip(SKIP_1) | instid1(VALU_DEP_4)
	v_fma_f64 v[28:29], v[30:31], s[10:11], v[36:37]
	v_fma_f64 v[32:33], v[30:31], s[20:21], v[36:37]
	;; [unrolled: 16-line block ×8, first 2 shown]
	v_fma_f64 v[103:104], v[107:108], s[20:21], v[111:112]
	v_fma_f64 v[107:108], v[107:108], s[10:11], v[111:112]
	ds_load_b128 v[109:112], v68 offset:720
	s_wait_dscnt 0x0
	v_fma_f64 v[123:124], v[123:124], -0.5, v[111:112]
	v_add_f64_e32 v[111:112], v[111:112], v[115:116]
	v_fma_f64 v[121:122], v[121:122], -0.5, v[109:110]
	v_add_f64_e32 v[109:110], v[109:110], v[113:114]
	s_delay_alu instid0(VALU_DEP_3) | instskip(SKIP_1) | instid1(VALU_DEP_3)
	v_add_f64_e32 v[111:112], v[111:112], v[119:120]
	v_add_f64_e64 v[119:120], v[113:114], -v[117:118]
	v_add_f64_e32 v[109:110], v[109:110], v[117:118]
	v_fma_f64 v[113:114], v[125:126], s[10:11], v[121:122]
	v_fma_f64 v[117:118], v[125:126], s[20:21], v[121:122]
	s_delay_alu instid0(VALU_DEP_4)
	v_fma_f64 v[115:116], v[119:120], s[20:21], v[123:124]
	v_fma_f64 v[119:120], v[119:120], s[10:11], v[123:124]
	ds_store_b128 v68, v[0:3]
	ds_store_b128 v68, v[12:15] offset:80
	ds_store_b128 v68, v[4:7] offset:800
	;; [unrolled: 1-line block ×29, first 2 shown]
	global_wb scope:SCOPE_SE
	s_wait_dscnt 0x0
	s_barrier_signal -1
	s_barrier_wait -1
	global_inv scope:SCOPE_SE
	s_clause 0x5
	scratch_load_b128 v[6:9], off, off offset:480 th:TH_LOAD_LU
	scratch_load_b128 v[10:13], off, off offset:464 th:TH_LOAD_LU
	;; [unrolled: 1-line block ×6, first 2 shown]
	ds_load_b128 v[0:3], v68
	s_clause 0xf
	scratch_load_b128 v[30:33], off, off offset:384 th:TH_LOAD_LU
	scratch_load_b128 v[46:49], off, off offset:368 th:TH_LOAD_LU
	;; [unrolled: 1-line block ×16, first 2 shown]
	s_wait_loadcnt_dscnt 0x1500
	v_mul_f64_e32 v[4:5], v[8:9], v[2:3]
	s_delay_alu instid0(VALU_DEP_1) | instskip(SKIP_1) | instid1(VALU_DEP_1)
	v_fma_f64 v[4:5], v[6:7], v[0:1], v[4:5]
	v_mul_f64_e32 v[0:1], v[8:9], v[0:1]
	v_fma_f64 v[6:7], v[6:7], v[2:3], -v[0:1]
	ds_load_b128 v[0:3], v68 offset:240
	s_wait_loadcnt_dscnt 0x1400
	v_mul_f64_e32 v[8:9], v[12:13], v[2:3]
	s_delay_alu instid0(VALU_DEP_1) | instskip(SKIP_1) | instid1(VALU_DEP_1)
	v_fma_f64 v[8:9], v[10:11], v[0:1], v[8:9]
	v_mul_f64_e32 v[0:1], v[12:13], v[0:1]
	v_fma_f64 v[10:11], v[10:11], v[2:3], -v[0:1]
	ds_load_b128 v[0:3], v68 offset:480
	;; [unrolled: 7-line block ×5, first 2 shown]
	s_wait_dscnt 0x0
	v_mul_f64_e32 v[24:25], v[28:29], v[2:3]
	s_delay_alu instid0(VALU_DEP_1) | instskip(SKIP_1) | instid1(VALU_DEP_1)
	v_fma_f64 v[24:25], v[26:27], v[0:1], v[24:25]
	v_mul_f64_e32 v[0:1], v[28:29], v[0:1]
	v_fma_f64 v[26:27], v[26:27], v[2:3], -v[0:1]
	ds_load_b128 v[0:3], v68 offset:1440
	s_wait_loadcnt_dscnt 0xf00
	v_mul_f64_e32 v[28:29], v[32:33], v[2:3]
	s_delay_alu instid0(VALU_DEP_1) | instskip(SKIP_1) | instid1(VALU_DEP_1)
	v_fma_f64 v[28:29], v[30:31], v[0:1], v[28:29]
	v_mul_f64_e32 v[0:1], v[32:33], v[0:1]
	v_fma_f64 v[30:31], v[30:31], v[2:3], -v[0:1]
	ds_load_b128 v[0:3], v68 offset:1680
	s_wait_loadcnt_dscnt 0xd00
	;; [unrolled: 7-line block ×3, first 2 shown]
	v_mul_f64_e32 v[36:37], v[40:41], v[2:3]
	s_delay_alu instid0(VALU_DEP_1) | instskip(SKIP_1) | instid1(VALU_DEP_1)
	v_fma_f64 v[36:37], v[38:39], v[0:1], v[36:37]
	v_mul_f64_e32 v[0:1], v[40:41], v[0:1]
	v_fma_f64 v[38:39], v[38:39], v[2:3], -v[0:1]
	ds_load_b128 v[0:3], v68 offset:2160
	s_wait_dscnt 0x0
	v_mul_f64_e32 v[40:41], v[44:45], v[2:3]
	s_delay_alu instid0(VALU_DEP_1) | instskip(SKIP_1) | instid1(VALU_DEP_1)
	v_fma_f64 v[40:41], v[42:43], v[0:1], v[40:41]
	v_mul_f64_e32 v[0:1], v[44:45], v[0:1]
	v_fma_f64 v[42:43], v[42:43], v[2:3], -v[0:1]
	ds_load_b128 v[0:3], v68 offset:80
	s_wait_dscnt 0x0
	v_mul_f64_e32 v[44:45], v[48:49], v[2:3]
	s_delay_alu instid0(VALU_DEP_1) | instskip(SKIP_1) | instid1(VALU_DEP_1)
	v_fma_f64 v[44:45], v[46:47], v[0:1], v[44:45]
	v_mul_f64_e32 v[0:1], v[48:49], v[0:1]
	v_fma_f64 v[46:47], v[46:47], v[2:3], -v[0:1]
	ds_load_b128 v[0:3], v68 offset:320
	s_wait_loadcnt_dscnt 0x900
	v_mul_f64_e32 v[48:49], v[52:53], v[2:3]
	s_delay_alu instid0(VALU_DEP_1) | instskip(SKIP_1) | instid1(VALU_DEP_1)
	v_fma_f64 v[48:49], v[50:51], v[0:1], v[48:49]
	v_mul_f64_e32 v[0:1], v[52:53], v[0:1]
	v_fma_f64 v[50:51], v[50:51], v[2:3], -v[0:1]
	ds_load_b128 v[0:3], v68 offset:560
	s_wait_loadcnt_dscnt 0x700
	;; [unrolled: 7-line block ×3, first 2 shown]
	v_mul_f64_e32 v[56:57], v[60:61], v[2:3]
	s_delay_alu instid0(VALU_DEP_1) | instskip(SKIP_1) | instid1(VALU_DEP_1)
	v_fma_f64 v[56:57], v[58:59], v[0:1], v[56:57]
	v_mul_f64_e32 v[0:1], v[60:61], v[0:1]
	v_fma_f64 v[58:59], v[58:59], v[2:3], -v[0:1]
	ds_load_b128 v[0:3], v68 offset:1040
	s_wait_dscnt 0x0
	v_mul_f64_e32 v[60:61], v[64:65], v[2:3]
	s_delay_alu instid0(VALU_DEP_1) | instskip(SKIP_1) | instid1(VALU_DEP_1)
	v_fma_f64 v[60:61], v[62:63], v[0:1], v[60:61]
	v_mul_f64_e32 v[0:1], v[64:65], v[0:1]
	v_fma_f64 v[62:63], v[62:63], v[2:3], -v[0:1]
	ds_load_b128 v[0:3], v68 offset:1280
	s_wait_loadcnt_dscnt 0x300
	v_mul_f64_e32 v[64:65], v[71:72], v[2:3]
	s_delay_alu instid0(VALU_DEP_1)
	v_fma_f64 v[64:65], v[69:70], v[0:1], v[64:65]
	v_mul_f64_e32 v[0:1], v[71:72], v[0:1]
	scratch_load_b128 v[71:74], off, off offset:216 th:TH_LOAD_LU ; 16-byte Folded Reload
	v_fma_f64 v[66:67], v[69:70], v[2:3], -v[0:1]
	ds_load_b128 v[0:3], v68 offset:1520
	s_wait_loadcnt_dscnt 0x0
	v_mul_f64_e32 v[69:70], v[73:74], v[2:3]
	s_delay_alu instid0(VALU_DEP_1) | instskip(SKIP_1) | instid1(VALU_DEP_1)
	v_fma_f64 v[69:70], v[71:72], v[0:1], v[69:70]
	v_mul_f64_e32 v[0:1], v[73:74], v[0:1]
	v_fma_f64 v[71:72], v[71:72], v[2:3], -v[0:1]
	ds_load_b128 v[0:3], v68 offset:1760
	s_wait_dscnt 0x0
	v_mul_f64_e32 v[73:74], v[77:78], v[2:3]
	s_delay_alu instid0(VALU_DEP_1) | instskip(SKIP_1) | instid1(VALU_DEP_1)
	v_fma_f64 v[73:74], v[75:76], v[0:1], v[73:74]
	v_mul_f64_e32 v[0:1], v[77:78], v[0:1]
	v_fma_f64 v[75:76], v[75:76], v[2:3], -v[0:1]
	ds_load_b128 v[0:3], v68 offset:2000
	s_wait_dscnt 0x0
	;; [unrolled: 7-line block ×6, first 2 shown]
	v_mul_f64_e32 v[93:94], v[97:98], v[2:3]
	s_delay_alu instid0(VALU_DEP_1) | instskip(SKIP_1) | instid1(VALU_DEP_1)
	v_fma_f64 v[93:94], v[95:96], v[0:1], v[93:94]
	v_mul_f64_e32 v[0:1], v[97:98], v[0:1]
	v_fma_f64 v[95:96], v[95:96], v[2:3], -v[0:1]
	scratch_load_b64 v[1:2], off, off offset:248 th:TH_LOAD_LU ; 8-byte Folded Reload
	s_wait_loadcnt 0x0
	s_wait_alu 0xfffe
	v_mul_f64_e32 v[2:3], s[2:3], v[6:7]
	scratch_load_b32 v6, off, off offset:528 th:TH_LOAD_LU ; 4-byte Folded Reload
	v_mad_co_u64_u32 v[97:98], null, s6, v1, 0
	s_delay_alu instid0(VALU_DEP_1) | instskip(NEXT) | instid1(VALU_DEP_1)
	v_mov_b32_e32 v0, v98
	v_mad_co_u64_u32 v[0:1], null, s7, v1, v[0:1]
	s_mul_u64 s[6:7], s[4:5], 0x1e0
	s_delay_alu instid0(VALU_DEP_1) | instskip(SKIP_3) | instid1(VALU_DEP_1)
	v_mov_b32_e32 v98, v0
	v_mul_f64_e32 v[0:1], s[2:3], v[4:5]
	s_wait_loadcnt 0x0
	v_mad_co_u64_u32 v[4:5], null, s4, v6, 0
	v_mad_co_u64_u32 v[5:6], null, s5, v6, v[5:6]
	v_lshlrev_b64_e32 v[6:7], 4, v[97:98]
	s_delay_alu instid0(VALU_DEP_2) | instskip(NEXT) | instid1(VALU_DEP_2)
	v_lshlrev_b64_e32 v[4:5], 4, v[4:5]
	v_add_co_u32 v107, vcc_lo, s0, v6
	s_wait_alu 0xfffd
	s_delay_alu instid0(VALU_DEP_3) | instskip(SKIP_1) | instid1(VALU_DEP_2)
	v_add_co_ci_u32_e32 v108, vcc_lo, s1, v7, vcc_lo
	s_mul_u64 s[0:1], s[4:5], 0xf0
	v_add_co_u32 v4, vcc_lo, v107, v4
	s_wait_alu 0xfffd
	s_delay_alu instid0(VALU_DEP_2)
	v_add_co_ci_u32_e32 v5, vcc_lo, v108, v5, vcc_lo
	v_mul_f64_e32 v[6:7], s[2:3], v[30:31]
	global_store_b128 v[4:5], v[0:3], off
	v_mul_f64_e32 v[0:1], s[2:3], v[8:9]
	v_mul_f64_e32 v[2:3], s[2:3], v[10:11]
	s_wait_alu 0xfffe
	v_add_co_u32 v4, vcc_lo, v4, s0
	s_wait_alu 0xfffd
	v_add_co_ci_u32_e32 v5, vcc_lo, s1, v5, vcc_lo
	v_mul_f64_e32 v[10:11], s[2:3], v[38:39]
	global_store_b128 v[4:5], v[0:3], off
	v_mul_f64_e32 v[0:1], s[2:3], v[12:13]
	v_mul_f64_e32 v[2:3], s[2:3], v[14:15]
	v_add_co_u32 v4, vcc_lo, v4, s0
	s_wait_alu 0xfffd
	v_add_co_ci_u32_e32 v5, vcc_lo, s1, v5, vcc_lo
	v_mul_f64_e32 v[12:13], s[2:3], v[40:41]
	v_mul_f64_e32 v[14:15], s[2:3], v[42:43]
	global_store_b128 v[4:5], v[0:3], off
	v_mul_f64_e32 v[0:1], s[2:3], v[16:17]
	v_mul_f64_e32 v[2:3], s[2:3], v[18:19]
	v_add_co_u32 v4, vcc_lo, v4, s0
	s_wait_alu 0xfffd
	v_add_co_ci_u32_e32 v5, vcc_lo, s1, v5, vcc_lo
	s_delay_alu instid0(VALU_DEP_2) | instskip(SKIP_1) | instid1(VALU_DEP_2)
	v_add_co_u32 v8, vcc_lo, v4, s0
	s_wait_alu 0xfffd
	v_add_co_ci_u32_e32 v9, vcc_lo, s1, v5, vcc_lo
	s_delay_alu instid0(VALU_DEP_2) | instskip(SKIP_1) | instid1(VALU_DEP_2)
	v_add_co_u32 v16, vcc_lo, v8, s0
	s_wait_alu 0xfffd
	v_add_co_ci_u32_e32 v17, vcc_lo, s1, v9, vcc_lo
	global_store_b128 v[4:5], v[0:3], off
	v_mul_f64_e32 v[0:1], s[2:3], v[20:21]
	v_mul_f64_e32 v[2:3], s[2:3], v[22:23]
	v_mul_f64_e32 v[4:5], s[2:3], v[28:29]
	v_add_co_u32 v22, vcc_lo, v16, s0
	s_wait_alu 0xfffd
	v_add_co_ci_u32_e32 v23, vcc_lo, s1, v17, vcc_lo
	scratch_load_b128 v[28:31], off, off offset:120 th:TH_LOAD_LU ; 16-byte Folded Reload
	global_store_b128 v[8:9], v[0:3], off
	scratch_load_b32 v9, off, off offset:4 th:TH_LOAD_LU ; 4-byte Folded Reload
	v_mul_f64_e32 v[0:1], s[2:3], v[24:25]
	v_mul_f64_e32 v[2:3], s[2:3], v[26:27]
	v_add_co_u32 v24, vcc_lo, v22, s0
	s_wait_alu 0xfffd
	v_add_co_ci_u32_e32 v25, vcc_lo, s1, v23, vcc_lo
	global_store_b128 v[16:17], v[0:3], off
	v_mul_f64_e32 v[0:1], s[2:3], v[32:33]
	v_mul_f64_e32 v[2:3], s[2:3], v[34:35]
	global_store_b128 v[22:23], v[4:7], off
	v_mul_f64_e32 v[4:5], s[2:3], v[44:45]
	v_mul_f64_e32 v[6:7], s[2:3], v[46:47]
	;; [unrolled: 1-line block ×3, first 2 shown]
	global_store_b128 v[24:25], v[0:3], off
	ds_load_b128 v[0:3], v68 offset:1120
	s_wait_loadcnt 0x1
	v_dual_mov_b32 v45, v29 :: v_dual_mov_b32 v44, v28
	s_wait_loadcnt 0x0
	v_mad_co_u64_u32 v[20:21], null, s4, v9, 0
	s_delay_alu instid0(VALU_DEP_1) | instskip(NEXT) | instid1(VALU_DEP_1)
	v_mov_b32_e32 v8, v21
	v_mad_co_u64_u32 v[18:19], null, s5, v9, v[8:9]
	v_mul_f64_e32 v[8:9], s[2:3], v[36:37]
	s_delay_alu instid0(VALU_DEP_2) | instskip(SKIP_3) | instid1(VALU_DEP_2)
	v_mov_b32_e32 v21, v18
	ds_load_b128 v[16:19], v68 offset:880
	v_lshlrev_b64_e32 v[26:27], 4, v[20:21]
	v_mul_f64_e32 v[20:21], s[2:3], v[48:49]
	v_add_co_u32 v26, vcc_lo, v107, v26
	s_wait_alu 0xfffd
	s_delay_alu instid0(VALU_DEP_3)
	v_add_co_ci_u32_e32 v27, vcc_lo, v108, v27, vcc_lo
	v_add_co_u32 v36, vcc_lo, v24, s6
	s_wait_alu 0xfffd
	v_add_co_ci_u32_e32 v37, vcc_lo, s7, v25, vcc_lo
	v_mul_f64_e32 v[24:25], s[2:3], v[56:57]
	s_wait_dscnt 0x0
	v_mul_f64_e32 v[32:33], v[30:31], v[18:19]
	s_delay_alu instid0(VALU_DEP_3)
	v_mad_co_u64_u32 v[38:39], null, 0xfffff7e0, s4, v[36:37]
	v_mul_f64_e32 v[34:35], v[30:31], v[16:17]
	ds_load_b128 v[28:31], v68 offset:1360
	v_add_nc_u32_e32 v39, s8, v39
	global_store_b128 v[26:27], v[8:11], off
	global_store_b128 v[36:37], v[12:15], off
	v_add_co_u32 v36, vcc_lo, v38, s0
	s_wait_alu 0xfffd
	v_add_co_ci_u32_e32 v37, vcc_lo, s1, v39, vcc_lo
	global_store_b128 v[38:39], v[4:7], off
	v_mul_f64_e32 v[8:9], s[2:3], v[52:53]
	v_mul_f64_e32 v[10:11], s[2:3], v[54:55]
	;; [unrolled: 1-line block ×3, first 2 shown]
	ds_load_b128 v[12:15], v68 offset:1600
	ds_load_b128 v[4:7], v68 offset:2080
	global_store_b128 v[36:37], v[20:23], off
	scratch_load_b128 v[20:23], off, off offset:72 th:TH_LOAD_LU ; 16-byte Folded Reload
	v_fma_f64 v[48:49], v[44:45], v[16:17], v[32:33]
	v_fma_f64 v[50:51], v[44:45], v[18:19], -v[34:35]
	scratch_load_b128 v[16:19], off, off offset:88 th:TH_LOAD_LU ; 16-byte Folded Reload
	s_wait_loadcnt 0x1
	v_dual_mov_b32 v98, v21 :: v_dual_mov_b32 v97, v20
	scratch_load_b32 v20, off, off th:TH_LOAD_LU ; 4-byte Folded Reload
	v_mul_f64_e32 v[38:39], v[22:23], v[2:3]
	v_mul_f64_e32 v[40:41], v[22:23], v[0:1]
	;; [unrolled: 1-line block ×3, first 2 shown]
	s_wait_loadcnt_dscnt 0x102
	v_mul_f64_e32 v[44:45], v[18:19], v[30:31]
	v_mul_f64_e32 v[46:47], v[18:19], v[28:29]
	v_dual_mov_b32 v102, v17 :: v_dual_mov_b32 v101, v16
	v_add_co_u32 v16, vcc_lo, v36, s0
	s_wait_alu 0xfffd
	v_add_co_ci_u32_e32 v17, vcc_lo, s1, v37, vcc_lo
	v_mul_f64_e32 v[36:37], s[2:3], v[81:82]
	s_delay_alu instid0(VALU_DEP_3) | instskip(SKIP_1) | instid1(VALU_DEP_3)
	v_add_co_u32 v32, vcc_lo, v16, s0
	s_wait_alu 0xfffd
	v_add_co_ci_u32_e32 v33, vcc_lo, s1, v17, vcc_lo
	global_store_b128 v[16:17], v[8:11], off
	v_add_co_u32 v52, vcc_lo, v32, s0
	global_store_b128 v[32:33], v[24:27], off
	s_wait_alu 0xfffd
	v_add_co_ci_u32_e32 v53, vcc_lo, s1, v33, vcc_lo
	v_mul_f64_e32 v[24:25], s[2:3], v[64:65]
	ds_load_b128 v[8:11], v68 offset:1840
	v_mul_f64_e32 v[26:27], s[2:3], v[66:67]
	v_fma_f64 v[62:63], v[97:98], v[0:1], v[38:39]
	v_fma_f64 v[64:65], v[97:98], v[2:3], -v[40:41]
	scratch_load_b128 v[0:3], off, off offset:24 th:TH_LOAD_LU ; 16-byte Folded Reload
	v_mul_f64_e32 v[38:39], s[2:3], v[83:84]
	v_mul_f64_e32 v[40:41], s[2:3], v[85:86]
	v_fma_f64 v[99:100], v[101:102], v[28:29], v[44:45]
	v_fma_f64 v[101:102], v[101:102], v[30:31], -v[46:47]
	v_mul_f64_e32 v[28:29], s[2:3], v[77:78]
	v_mul_f64_e32 v[30:31], s[2:3], v[79:80]
	;; [unrolled: 1-line block ×4, first 2 shown]
	s_wait_loadcnt 0x1
	v_mad_co_u64_u32 v[42:43], null, s4, v20, 0
	s_delay_alu instid0(VALU_DEP_1) | instskip(NEXT) | instid1(VALU_DEP_1)
	v_mov_b32_e32 v18, v43
	v_mad_co_u64_u32 v[34:35], null, s5, v20, v[18:19]
	ds_load_b128 v[16:19], v68 offset:2320
	v_mul_f64_e32 v[20:21], s[2:3], v[60:61]
	v_add_co_u32 v60, vcc_lo, v52, s6
	s_wait_alu 0xfffd
	v_add_co_ci_u32_e32 v61, vcc_lo, s7, v53, vcc_lo
	v_mov_b32_e32 v43, v34
	scratch_load_b128 v[32:35], off, off offset:40 th:TH_LOAD_LU ; 16-byte Folded Reload
	v_lshlrev_b64_e32 v[58:59], 4, v[42:43]
	v_mul_f64_e32 v[42:43], s[2:3], v[87:88]
	s_wait_loadcnt 0x1
	v_mov_b32_e32 v112, v1
	s_wait_dscnt 0x1
	v_mul_f64_e32 v[66:67], v[2:3], v[10:11]
	v_mov_b32_e32 v111, v0
	s_delay_alu instid0(VALU_DEP_1)
	v_fma_f64 v[66:67], v[111:112], v[8:9], v[66:67]
	s_wait_loadcnt 0x0
	v_dual_mov_b32 v110, v33 :: v_dual_mov_b32 v109, v32
	v_mul_f64_e32 v[32:33], s[2:3], v[69:70]
	v_mul_f64_e32 v[68:69], v[2:3], v[8:9]
	scratch_load_b128 v[0:3], off, off offset:56 th:TH_LOAD_LU ; 16-byte Folded Reload
	v_mul_f64_e32 v[54:55], v[34:35], v[14:15]
	v_mul_f64_e32 v[56:57], v[34:35], v[12:13]
	;; [unrolled: 1-line block ×3, first 2 shown]
	v_add_co_u32 v72, vcc_lo, v60, s0
	v_fma_f64 v[68:69], v[111:112], v[10:11], -v[68:69]
	v_mul_f64_e32 v[10:11], s[2:3], v[64:65]
	v_fma_f64 v[54:55], v[109:110], v[12:13], v[54:55]
	v_fma_f64 v[56:57], v[109:110], v[14:15], -v[56:57]
	s_wait_loadcnt 0x0
	v_mov_b32_e32 v114, v1
	v_mul_f64_e32 v[70:71], v[2:3], v[6:7]
	v_mul_f64_e32 v[97:98], v[2:3], v[4:5]
	v_mov_b32_e32 v113, v0
	scratch_load_b128 v[0:3], off, off offset:104 th:TH_LOAD_LU ; 16-byte Folded Reload
	v_fma_f64 v[70:71], v[113:114], v[4:5], v[70:71]
	s_wait_loadcnt_dscnt 0x0
	v_mul_f64_e32 v[103:104], v[2:3], v[18:19]
	v_mul_f64_e32 v[105:106], v[2:3], v[16:17]
	v_dual_mov_b32 v116, v1 :: v_dual_mov_b32 v115, v0
	v_mul_f64_e32 v[0:1], s[2:3], v[73:74]
	v_mul_f64_e32 v[2:3], s[2:3], v[75:76]
	v_fma_f64 v[76:77], v[113:114], v[6:7], -v[97:98]
	s_wait_alu 0xfffd
	v_add_co_ci_u32_e32 v73, vcc_lo, s1, v61, vcc_lo
	v_add_co_u32 v74, vcc_lo, v72, s0
	v_mul_f64_e32 v[6:7], s[2:3], v[50:51]
	s_wait_alu 0xfffd
	s_delay_alu instid0(VALU_DEP_3) | instskip(NEXT) | instid1(VALU_DEP_3)
	v_add_co_ci_u32_e32 v75, vcc_lo, s1, v73, vcc_lo
	v_add_co_u32 v12, vcc_lo, v74, s0
	s_wait_alu 0xfffd
	s_delay_alu instid0(VALU_DEP_2) | instskip(SKIP_3) | instid1(VALU_DEP_3)
	v_add_co_ci_u32_e32 v13, vcc_lo, s1, v75, vcc_lo
	v_add_co_u32 v14, vcc_lo, v107, v58
	s_wait_alu 0xfffd
	v_add_co_ci_u32_e32 v15, vcc_lo, v108, v59, vcc_lo
	v_mad_co_u64_u32 v[58:59], null, 0xfffff7e0, s4, v[12:13]
	global_store_b128 v[52:53], v[20:23], off
	global_store_b128 v[14:15], v[24:27], off
	;; [unrolled: 1-line block ×4, first 2 shown]
	v_fma_f64 v[78:79], v[115:116], v[16:17], v[103:104]
	v_fma_f64 v[80:81], v[115:116], v[18:19], -v[105:106]
	v_mad_co_u64_u32 v[32:33], null, s4, v197, 0
	v_mul_f64_e32 v[0:1], s[2:3], v[93:94]
	v_mul_f64_e32 v[2:3], s[2:3], v[95:96]
	v_add_nc_u32_e32 v59, s8, v59
	v_add_co_u32 v8, vcc_lo, v58, s0
	v_mul_f64_e32 v[14:15], s[2:3], v[101:102]
	v_mov_b32_e32 v4, v33
	s_wait_alu 0xfffd
	v_add_co_ci_u32_e32 v9, vcc_lo, s1, v59, vcc_lo
	global_store_b128 v[74:75], v[28:31], off
	global_store_b128 v[12:13], v[36:39], off
	;; [unrolled: 1-line block ×3, first 2 shown]
	v_mul_f64_e32 v[12:13], s[2:3], v[99:100]
	v_mad_co_u64_u32 v[33:34], null, s5, v197, v[4:5]
	v_mul_f64_e32 v[4:5], s[2:3], v[48:49]
	v_add_co_u32 v34, vcc_lo, v8, s6
	global_store_b128 v[8:9], v[44:47], off
	s_wait_alu 0xfffd
	v_add_co_ci_u32_e32 v35, vcc_lo, s7, v9, vcc_lo
	v_mul_f64_e32 v[8:9], s[2:3], v[62:63]
	v_mul_f64_e32 v[16:17], s[2:3], v[54:55]
	;; [unrolled: 1-line block ×7, first 2 shown]
	v_add_co_u32 v36, vcc_lo, v34, s0
	s_wait_alu 0xfffd
	v_add_co_ci_u32_e32 v37, vcc_lo, s1, v35, vcc_lo
	v_lshlrev_b64_e32 v[32:33], 4, v[32:33]
	s_delay_alu instid0(VALU_DEP_3) | instskip(SKIP_1) | instid1(VALU_DEP_3)
	v_add_co_u32 v38, vcc_lo, v36, s0
	s_wait_alu 0xfffd
	v_add_co_ci_u32_e32 v39, vcc_lo, s1, v37, vcc_lo
	v_mul_f64_e32 v[28:29], s[2:3], v[78:79]
	v_mul_f64_e32 v[30:31], s[2:3], v[80:81]
	v_add_co_u32 v32, vcc_lo, v107, v32
	s_wait_alu 0xfffd
	v_add_co_ci_u32_e32 v33, vcc_lo, v108, v33, vcc_lo
	v_add_co_u32 v40, vcc_lo, v38, s0
	s_wait_alu 0xfffd
	v_add_co_ci_u32_e32 v41, vcc_lo, s1, v39, vcc_lo
	global_store_b128 v[32:33], v[0:3], off
	v_add_co_u32 v0, vcc_lo, v40, s0
	s_wait_alu 0xfffd
	v_add_co_ci_u32_e32 v1, vcc_lo, s1, v41, vcc_lo
	s_delay_alu instid0(VALU_DEP_2) | instskip(SKIP_1) | instid1(VALU_DEP_2)
	v_add_co_u32 v2, vcc_lo, v0, s0
	s_wait_alu 0xfffd
	v_add_co_ci_u32_e32 v3, vcc_lo, s1, v1, vcc_lo
	global_store_b128 v[34:35], v[4:7], off
	v_add_co_u32 v4, vcc_lo, v2, s0
	s_wait_alu 0xfffd
	v_add_co_ci_u32_e32 v5, vcc_lo, s1, v3, vcc_lo
	global_store_b128 v[36:37], v[8:11], off
	global_store_b128 v[38:39], v[12:15], off
	;; [unrolled: 1-line block ×6, first 2 shown]
.LBB0_2:
	s_nop 0
	s_sendmsg sendmsg(MSG_DEALLOC_VGPRS)
	s_endpgm
	.section	.rodata,"a",@progbits
	.p2align	6, 0x0
	.amdhsa_kernel bluestein_single_back_len150_dim1_dp_op_CI_CI
		.amdhsa_group_segment_fixed_size 28800
		.amdhsa_private_segment_fixed_size 636
		.amdhsa_kernarg_size 104
		.amdhsa_user_sgpr_count 2
		.amdhsa_user_sgpr_dispatch_ptr 0
		.amdhsa_user_sgpr_queue_ptr 0
		.amdhsa_user_sgpr_kernarg_segment_ptr 1
		.amdhsa_user_sgpr_dispatch_id 0
		.amdhsa_user_sgpr_private_segment_size 0
		.amdhsa_wavefront_size32 1
		.amdhsa_uses_dynamic_stack 0
		.amdhsa_enable_private_segment 1
		.amdhsa_system_sgpr_workgroup_id_x 1
		.amdhsa_system_sgpr_workgroup_id_y 0
		.amdhsa_system_sgpr_workgroup_id_z 0
		.amdhsa_system_sgpr_workgroup_info 0
		.amdhsa_system_vgpr_workitem_id 0
		.amdhsa_next_free_vgpr 256
		.amdhsa_next_free_sgpr 28
		.amdhsa_reserve_vcc 1
		.amdhsa_float_round_mode_32 0
		.amdhsa_float_round_mode_16_64 0
		.amdhsa_float_denorm_mode_32 3
		.amdhsa_float_denorm_mode_16_64 3
		.amdhsa_fp16_overflow 0
		.amdhsa_workgroup_processor_mode 1
		.amdhsa_memory_ordered 1
		.amdhsa_forward_progress 0
		.amdhsa_round_robin_scheduling 0
		.amdhsa_exception_fp_ieee_invalid_op 0
		.amdhsa_exception_fp_denorm_src 0
		.amdhsa_exception_fp_ieee_div_zero 0
		.amdhsa_exception_fp_ieee_overflow 0
		.amdhsa_exception_fp_ieee_underflow 0
		.amdhsa_exception_fp_ieee_inexact 0
		.amdhsa_exception_int_div_zero 0
	.end_amdhsa_kernel
	.text
.Lfunc_end0:
	.size	bluestein_single_back_len150_dim1_dp_op_CI_CI, .Lfunc_end0-bluestein_single_back_len150_dim1_dp_op_CI_CI
                                        ; -- End function
	.section	.AMDGPU.csdata,"",@progbits
; Kernel info:
; codeLenInByte = 29068
; NumSgprs: 30
; NumVgprs: 256
; ScratchSize: 636
; MemoryBound: 0
; FloatMode: 240
; IeeeMode: 1
; LDSByteSize: 28800 bytes/workgroup (compile time only)
; SGPRBlocks: 3
; VGPRBlocks: 31
; NumSGPRsForWavesPerEU: 30
; NumVGPRsForWavesPerEU: 256
; Occupancy: 2
; WaveLimiterHint : 1
; COMPUTE_PGM_RSRC2:SCRATCH_EN: 1
; COMPUTE_PGM_RSRC2:USER_SGPR: 2
; COMPUTE_PGM_RSRC2:TRAP_HANDLER: 0
; COMPUTE_PGM_RSRC2:TGID_X_EN: 1
; COMPUTE_PGM_RSRC2:TGID_Y_EN: 0
; COMPUTE_PGM_RSRC2:TGID_Z_EN: 0
; COMPUTE_PGM_RSRC2:TIDIG_COMP_CNT: 0
	.text
	.p2alignl 7, 3214868480
	.fill 96, 4, 3214868480
	.type	__hip_cuid_1319ff45ebf297b4,@object ; @__hip_cuid_1319ff45ebf297b4
	.section	.bss,"aw",@nobits
	.globl	__hip_cuid_1319ff45ebf297b4
__hip_cuid_1319ff45ebf297b4:
	.byte	0                               ; 0x0
	.size	__hip_cuid_1319ff45ebf297b4, 1

	.ident	"AMD clang version 19.0.0git (https://github.com/RadeonOpenCompute/llvm-project roc-6.4.0 25133 c7fe45cf4b819c5991fe208aaa96edf142730f1d)"
	.section	".note.GNU-stack","",@progbits
	.addrsig
	.addrsig_sym __hip_cuid_1319ff45ebf297b4
	.amdgpu_metadata
---
amdhsa.kernels:
  - .args:
      - .actual_access:  read_only
        .address_space:  global
        .offset:         0
        .size:           8
        .value_kind:     global_buffer
      - .actual_access:  read_only
        .address_space:  global
        .offset:         8
        .size:           8
        .value_kind:     global_buffer
      - .actual_access:  read_only
        .address_space:  global
        .offset:         16
        .size:           8
        .value_kind:     global_buffer
      - .actual_access:  read_only
        .address_space:  global
        .offset:         24
        .size:           8
        .value_kind:     global_buffer
      - .actual_access:  read_only
        .address_space:  global
        .offset:         32
        .size:           8
        .value_kind:     global_buffer
      - .offset:         40
        .size:           8
        .value_kind:     by_value
      - .address_space:  global
        .offset:         48
        .size:           8
        .value_kind:     global_buffer
      - .address_space:  global
        .offset:         56
        .size:           8
        .value_kind:     global_buffer
      - .address_space:  global
        .offset:         64
        .size:           8
        .value_kind:     global_buffer
      - .address_space:  global
        .offset:         72
        .size:           8
        .value_kind:     global_buffer
      - .offset:         80
        .size:           4
        .value_kind:     by_value
      - .address_space:  global
        .offset:         88
        .size:           8
        .value_kind:     global_buffer
      - .address_space:  global
        .offset:         96
        .size:           8
        .value_kind:     global_buffer
    .group_segment_fixed_size: 28800
    .kernarg_segment_align: 8
    .kernarg_segment_size: 104
    .language:       OpenCL C
    .language_version:
      - 2
      - 0
    .max_flat_workgroup_size: 60
    .name:           bluestein_single_back_len150_dim1_dp_op_CI_CI
    .private_segment_fixed_size: 636
    .sgpr_count:     30
    .sgpr_spill_count: 0
    .symbol:         bluestein_single_back_len150_dim1_dp_op_CI_CI.kd
    .uniform_work_group_size: 1
    .uses_dynamic_stack: false
    .vgpr_count:     256
    .vgpr_spill_count: 169
    .wavefront_size: 32
    .workgroup_processor_mode: 1
amdhsa.target:   amdgcn-amd-amdhsa--gfx1201
amdhsa.version:
  - 1
  - 2
...

	.end_amdgpu_metadata
